;; amdgpu-corpus repo=zjin-lcf/HeCBench kind=compiled arch=gfx1100 opt=O3
	.text
	.amdgcn_target "amdgcn-amd-amdhsa--gfx1100"
	.amdhsa_code_object_version 6
	.p2align	2                               ; -- Begin function _Z17MT_generate_arrayv
	.type	_Z17MT_generate_arrayv,@function
_Z17MT_generate_arrayv:                 ; @_Z17MT_generate_arrayv
; %bb.0:
	s_waitcnt vmcnt(0) expcnt(0) lgkmcnt(0)
	v_and_b32_e32 v5, 0x3ff, v31
	s_mov_b32 s2, exec_lo
	s_delay_alu instid0(VALU_DEP_1) | instskip(SKIP_1) | instid1(VALU_DEP_2)
	v_lshrrev_b32_e32 v4, 5, v5
	v_and_b32_e32 v6, 31, v5
	v_lshlrev_b32_e32 v0, 4, v4
	v_mul_u32_u24_e32 v5, 0x180, v4
	ds_load_b128 v[0:3], v0 offset:17280
	s_waitcnt lgkmcnt(0)
	v_sub_nc_u32_e32 v7, 0x65, v0
	s_delay_alu instid0(VALU_DEP_1) | instskip(SKIP_1) | instid1(VALU_DEP_2)
	v_min_i32_e32 v8, 0x60, v7
	v_lshlrev_b32_e32 v7, 7, v4
	v_cmpx_lt_u32_e64 v6, v8
	s_cbranch_execz .LBB0_3
; %bb.1:
	v_dual_mov_b32 v15, v6 :: v_dual_lshlrev_b32 v10, 2, v6
	v_mul_u32_u24_e32 v12, 0x194, v4
	v_add_lshl_u32 v13, v0, v6, 2
	v_add_nc_u32_e32 v11, 0x3180, v7
	s_delay_alu instid0(VALU_DEP_4)
	v_mad_u32_u24 v9, 0x194, v4, v10
	v_or_b32_e32 v14, v5, v10
	v_add_nc_u32_e32 v10, 0x3140, v7
	v_add3_u32 v12, v12, v13, -4
	s_mov_b32 s3, 0
	v_lshl_add_u32 v13, v0, 2, v9
	v_add_nc_u32_e32 v14, 0x1940, v14
	s_mov_b32 s4, 0
	s_mov_b64 s[0:1], src_shared_base
.LBB0_2:                                ; =>This Inner Loop Header: Depth=1
	s_delay_alu instid0(SALU_CYCLE_1) | instskip(SKIP_2) | instid1(VALU_DEP_3)
	v_dual_mov_b32 v17, s1 :: v_dual_add_nc_u32 v16, s3, v9
	v_dual_mov_b32 v21, s1 :: v_dual_add_nc_u32 v20, s3, v13
	v_add_nc_u32_e32 v15, 32, v15
	v_dual_mov_b32 v19, s1 :: v_dual_add_nc_u32 v18, 4, v16
	flat_load_b32 v22, v[16:17] glc dlc
	s_waitcnt vmcnt(0)
	flat_load_b32 v18, v[18:19] glc dlc
	s_waitcnt vmcnt(0)
	;; [unrolled: 2-line block ×3, first 2 shown]
	v_cmp_ge_u32_e32 vcc_lo, v15, v8
	s_waitcnt lgkmcnt(2)
	v_and_b32_e32 v20, v22, v3
	s_waitcnt lgkmcnt(0)
	v_lshrrev_b32_e32 v19, v2, v19
	s_delay_alu instid0(VALU_DEP_2) | instskip(NEXT) | instid1(VALU_DEP_1)
	v_xor_b32_e32 v18, v20, v18
	v_lshlrev_b32_e32 v20, v1, v18
	s_delay_alu instid0(VALU_DEP_1) | instskip(SKIP_1) | instid1(VALU_DEP_2)
	v_xor3_b32 v20, v19, v20, v18
	v_dual_mov_b32 v19, s1 :: v_dual_add_nc_u32 v18, s3, v12
	v_and_b32_e32 v21, 15, v20
	s_delay_alu instid0(VALU_DEP_1)
	v_lshl_add_u32 v21, v21, 2, v10
	ds_load_b32 v21, v21
	flat_load_b32 v18, v[18:19] glc dlc
	s_waitcnt vmcnt(0) lgkmcnt(1)
	v_xor_b32_e32 v20, v20, v21
	s_waitcnt lgkmcnt(0)
	v_lshrrev_b32_e32 v19, 16, v18
	s_delay_alu instid0(VALU_DEP_1) | instskip(NEXT) | instid1(VALU_DEP_1)
	v_xor_b32_e32 v18, v19, v18
	v_lshrrev_b32_e32 v19, 8, v18
	s_delay_alu instid0(VALU_DEP_1) | instskip(SKIP_1) | instid1(VALU_DEP_2)
	v_xor_b32_e32 v18, v19, v18
	v_lshrrev_b32_e32 v19, 9, v20
	v_and_b32_e32 v18, 15, v18
	s_delay_alu instid0(VALU_DEP_1) | instskip(SKIP_4) | instid1(VALU_DEP_2)
	v_lshl_add_u32 v18, v18, 2, v11
	ds_load_b32 v18, v18
	s_waitcnt lgkmcnt(0)
	v_xor_b32_e32 v18, v19, v18
	v_mov_b32_e32 v19, s1
	v_or_b32_e32 v21, 1, v18
	v_add_nc_u32_e32 v18, s3, v14
	s_addk_i32 s3, 0x80
	s_or_b32 s4, vcc_lo, s4
	s_delay_alu instid0(VALU_DEP_2)
	v_add_f32_e32 v21, -1.0, v21
	flat_store_b32 v[18:19], v21 dlc
	s_waitcnt_vscnt null, 0x0
	flat_store_b32 v[16:17], v20 dlc
	s_waitcnt_vscnt null, 0x0
	s_and_not1_b32 exec_lo, exec_lo, s4
	s_cbranch_execnz .LBB0_2
.LBB0_3:
	s_or_b32 exec_lo, exec_lo, s2
	v_add_nc_u32_e32 v9, v8, v6
	s_mov_b32 s2, exec_lo
	s_delay_alu instid0(VALU_DEP_1)
	v_cmpx_gt_i32_e32 0x65, v9
	s_cbranch_execz .LBB0_8
; %bb.4:
	v_add_nc_u32_e32 v8, v0, v8
	v_lshlrev_b32_e32 v10, 2, v9
	v_subrev_nc_u32_e32 v11, 32, v9
	s_mov_b32 s3, 0
	s_mov_b32 s4, 0
	v_add_lshl_u32 v12, v8, v6, 2
	v_add_nc_u32_e32 v6, 0x3140, v7
	v_add_nc_u32_e32 v7, 0x3180, v7
	v_mad_u32_u24 v8, 0x194, v4, v10
	v_add3_u32 v10, v5, v10, 0x1940
	v_mad_u32_u24 v9, 0x194, v4, v12
	s_mov_b64 s[0:1], src_shared_base
	s_branch .LBB0_6
.LBB0_5:                                ;   in Loop: Header=BB0_6 Depth=1
	s_or_b32 exec_lo, exec_lo, s0
	v_cmp_lt_i32_e32 vcc_lo, 0x44, v11
	s_addk_i32 s3, 0x80
	flat_store_b32 v[4:5], v12 dlc
	s_waitcnt_vscnt null, 0x0
	s_or_b32 s4, vcc_lo, s4
	s_delay_alu instid0(SALU_CYCLE_1)
	s_and_not1_b32 exec_lo, exec_lo, s4
	s_cbranch_execz .LBB0_8
.LBB0_6:                                ; =>This Inner Loop Header: Depth=1
	v_dual_mov_b32 v17, v11 :: v_dual_add_nc_u32 v4, s3, v8
	s_delay_alu instid0(VALU_DEP_2) | instskip(SKIP_1) | instid1(VALU_DEP_2)
	v_dual_mov_b32 v5, s1 :: v_dual_add_nc_u32 v14, s3, v9
	s_mov_b32 s0, exec_lo
	v_dual_mov_b32 v12, s1 :: v_dual_add_nc_u32 v13, v0, v17
	v_cmp_eq_u32_e32 vcc_lo, 0x44, v17
	flat_load_b32 v18, v[4:5] glc dlc
	s_waitcnt vmcnt(0)
	v_dual_mov_b32 v16, s1 :: v_dual_add_nc_u32 v15, 32, v13
	v_cndmask_b32_e64 v11, 0, 0xfffffe6c, vcc_lo
	s_delay_alu instid0(VALU_DEP_2) | instskip(NEXT) | instid1(VALU_DEP_2)
	v_cmp_gt_u32_e32 vcc_lo, 0x65, v15
	v_add3_u32 v11, v4, v11, 4
	v_cndmask_b32_e64 v15, 0xfffffe6c, 0, vcc_lo
	flat_load_b32 v11, v[11:12] glc dlc
	s_waitcnt vmcnt(0)
	v_add_nc_u32_e32 v15, v14, v15
	flat_load_b32 v12, v[15:16] glc dlc
	s_waitcnt vmcnt(0) lgkmcnt(2)
	v_and_b32_e32 v15, v18, v3
	s_waitcnt lgkmcnt(1)
	s_delay_alu instid0(VALU_DEP_1) | instskip(NEXT) | instid1(VALU_DEP_1)
	v_xor_b32_e32 v11, v15, v11
	v_lshlrev_b32_e32 v15, v1, v11
	s_waitcnt lgkmcnt(0)
	v_lshrrev_b32_e32 v12, v2, v12
	s_delay_alu instid0(VALU_DEP_1) | instskip(NEXT) | instid1(VALU_DEP_1)
	v_xor3_b32 v12, v12, v15, v11
	v_and_b32_e32 v11, 15, v12
	s_delay_alu instid0(VALU_DEP_1) | instskip(SKIP_4) | instid1(VALU_DEP_2)
	v_lshl_add_u32 v11, v11, 2, v6
	ds_load_b32 v15, v11
	v_add_nc_u32_e32 v11, 32, v17
	s_waitcnt lgkmcnt(0)
	v_xor_b32_e32 v12, v12, v15
	v_cmpx_gt_i32_e32 0x60, v11
	s_cbranch_execz .LBB0_5
; %bb.7:                                ;   in Loop: Header=BB0_6 Depth=1
	v_add_nc_u32_e32 v13, 31, v13
	v_mov_b32_e32 v15, s1
	s_delay_alu instid0(VALU_DEP_2) | instskip(SKIP_1) | instid1(VALU_DEP_1)
	v_cmp_gt_u32_e32 vcc_lo, 0x65, v13
	v_cndmask_b32_e64 v13, 0xfffffe6c, 0, vcc_lo
	v_add3_u32 v14, v14, v13, -4
	flat_load_b32 v13, v[14:15] glc dlc
	s_waitcnt vmcnt(0) lgkmcnt(0)
	v_lshrrev_b32_e32 v14, 16, v13
	s_delay_alu instid0(VALU_DEP_1) | instskip(NEXT) | instid1(VALU_DEP_1)
	v_xor_b32_e32 v13, v14, v13
	v_lshrrev_b32_e32 v14, 8, v13
	s_delay_alu instid0(VALU_DEP_1) | instskip(SKIP_1) | instid1(VALU_DEP_2)
	v_xor_b32_e32 v13, v14, v13
	v_lshrrev_b32_e32 v14, 9, v12
	v_and_b32_e32 v13, 15, v13
	s_delay_alu instid0(VALU_DEP_1) | instskip(SKIP_4) | instid1(VALU_DEP_2)
	v_lshl_add_u32 v13, v13, 2, v7
	ds_load_b32 v13, v13
	s_waitcnt lgkmcnt(0)
	v_xor_b32_e32 v13, v13, v14
	v_add_nc_u32_e32 v14, s3, v10
	v_or_b32_e32 v13, 1, v13
	s_delay_alu instid0(VALU_DEP_1)
	v_add_f32_e32 v13, -1.0, v13
	flat_store_b32 v[14:15], v13 dlc
	s_waitcnt_vscnt null, 0x0
	s_branch .LBB0_5
.LBB0_8:
	s_or_b32 exec_lo, exec_lo, s2
	s_waitcnt lgkmcnt(0)
	s_setpc_b64 s[30:31]
.Lfunc_end0:
	.size	_Z17MT_generate_arrayv, .Lfunc_end0-_Z17MT_generate_arrayv
                                        ; -- End function
	.section	.AMDGPU.csdata,"",@progbits
; Function info:
; codeLenInByte = 1004
; NumSgprs: 34
; NumVgprs: 32
; ScratchSize: 0
; MemoryBound: 0
	.text
	.protected	_Z22simulation_step_kernelbb ; -- Begin function _Z22simulation_step_kernelbb
	.globl	_Z22simulation_step_kernelbb
	.p2align	8
	.type	_Z22simulation_step_kernelbb,@function
_Z22simulation_step_kernelbb:           ; @_Z22simulation_step_kernelbb
; %bb.0:
	s_load_b32 s2, s[0:1], 0x8
	s_mov_b64 s[6:7], s[0:1]
	v_mov_b32_e32 v1, 0
	s_add_u32 s0, s6, 8
	s_addc_u32 s1, s7, 0
	v_mov_b32_e32 v31, v0
	s_mov_b32 s29, 0
	s_mov_b32 s13, exec_lo
	s_mov_b32 s32, 0
	s_waitcnt lgkmcnt(0)
	s_mul_i32 s3, s2, s15
	s_delay_alu instid0(SALU_CYCLE_1) | instskip(SKIP_2) | instid1(SALU_CYCLE_1)
	s_add_i32 s28, s3, s14
	s_cmp_lt_u32 s14, s2
	s_cselect_b32 s2, 12, 18
	s_add_u32 s2, s0, s2
	s_addc_u32 s3, s1, 0
	global_load_u16 v2, v1, s[2:3]
	s_getpc_b64 s[2:3]
	s_add_u32 s2, s2, detector@rel32@lo+28
	s_addc_u32 s3, s3, detector@rel32@hi+36
	s_load_b64 s[2:3], s[2:3], 0x0
	s_waitcnt lgkmcnt(0)
	s_mul_i32 s12, s3, s2
	s_delay_alu instid0(SALU_CYCLE_1)
	v_cmpx_gt_u32_e64 s12, v31
	s_cbranch_execz .LBB1_9
; %bb.1:
	s_getpc_b64 s[2:3]
	s_add_u32 s2, s2, detector_scores_count@rel32@lo+4
	s_addc_u32 s3, s3, detector_scores_count@rel32@hi+12
	s_lshl_b64 s[4:5], s[28:29], 5
	s_load_b32 s0, s[0:1], 0xc
	s_add_u32 s2, s4, s2
	s_addc_u32 s3, s5, s3
	s_getpc_b64 s[8:9]
	s_add_u32 s8, s8, detector_scores_energy@rel32@lo+4
	s_addc_u32 s9, s9, detector_scores_energy@rel32@hi+12
	s_add_u32 s4, s4, s8
	s_addc_u32 s5, s5, s9
	s_load_b64 s[8:9], s[2:3], 0x0
	s_load_b64 s[10:11], s[4:5], 0x0
	v_mov_b32_e32 v0, v31
	s_mov_b32 s14, s29
	s_waitcnt lgkmcnt(0)
	s_and_b32 s1, s0, 0xffff
	.p2align	6
.LBB1_2:                                ; =>This Inner Loop Header: Depth=1
	s_delay_alu instid0(VALU_DEP_1) | instskip(SKIP_1) | instid1(VALU_DEP_1)
	v_lshlrev_b64 v[3:4], 2, v[0:1]
	v_add_nc_u32_e32 v0, s1, v0
	v_cmp_le_u32_e32 vcc_lo, s12, v0
	s_delay_alu instid0(VALU_DEP_3) | instskip(NEXT) | instid1(VALU_DEP_1)
	v_add_co_u32 v5, s0, s8, v3
	v_add_co_ci_u32_e64 v6, s0, s9, v4, s0
	v_add_co_u32 v3, s0, s10, v3
	s_delay_alu instid0(VALU_DEP_1)
	v_add_co_ci_u32_e64 v4, s0, s11, v4, s0
	s_or_b32 s14, vcc_lo, s14
	global_store_b32 v[5:6], v1, off
	global_store_b32 v[3:4], v1, off
	s_and_not1_b32 exec_lo, exec_lo, s14
	s_cbranch_execnz .LBB1_2
; %bb.3:
	s_or_b32 exec_lo, exec_lo, s14
	s_load_b64 s[8:9], s[2:3], 0x8
	s_load_b64 s[10:11], s[4:5], 0x8
	v_dual_mov_b32 v1, 0 :: v_dual_mov_b32 v0, v31
	s_mov_b32 s14, 0
	.p2align	6
.LBB1_4:                                ; =>This Inner Loop Header: Depth=1
	s_delay_alu instid0(VALU_DEP_1) | instskip(SKIP_1) | instid1(VALU_DEP_1)
	v_lshlrev_b64 v[3:4], 2, v[0:1]
	v_add_nc_u32_e32 v0, s1, v0
	v_cmp_le_u32_e32 vcc_lo, s12, v0
	s_waitcnt lgkmcnt(0)
	s_delay_alu instid0(VALU_DEP_3) | instskip(NEXT) | instid1(VALU_DEP_1)
	v_add_co_u32 v5, s0, s8, v3
	v_add_co_ci_u32_e64 v6, s0, s9, v4, s0
	v_add_co_u32 v3, s0, s10, v3
	s_delay_alu instid0(VALU_DEP_1)
	v_add_co_ci_u32_e64 v4, s0, s11, v4, s0
	s_or_b32 s14, vcc_lo, s14
	global_store_b32 v[5:6], v1, off
	global_store_b32 v[3:4], v1, off
	s_and_not1_b32 exec_lo, exec_lo, s14
	s_cbranch_execnz .LBB1_4
; %bb.5:
	s_or_b32 exec_lo, exec_lo, s14
	s_load_b64 s[8:9], s[2:3], 0x10
	s_load_b64 s[10:11], s[4:5], 0x10
	v_dual_mov_b32 v1, 0 :: v_dual_mov_b32 v0, v31
	s_mov_b32 s14, 0
	.p2align	6
.LBB1_6:                                ; =>This Inner Loop Header: Depth=1
	s_delay_alu instid0(VALU_DEP_1) | instskip(SKIP_1) | instid1(VALU_DEP_1)
	v_lshlrev_b64 v[3:4], 2, v[0:1]
	v_add_nc_u32_e32 v0, s1, v0
	v_cmp_le_u32_e32 vcc_lo, s12, v0
	s_waitcnt lgkmcnt(0)
	s_delay_alu instid0(VALU_DEP_3) | instskip(NEXT) | instid1(VALU_DEP_1)
	v_add_co_u32 v5, s0, s8, v3
	v_add_co_ci_u32_e64 v6, s0, s9, v4, s0
	v_add_co_u32 v3, s0, s10, v3
	s_delay_alu instid0(VALU_DEP_1)
	v_add_co_ci_u32_e64 v4, s0, s11, v4, s0
	s_or_b32 s14, vcc_lo, s14
	global_store_b32 v[5:6], v1, off
	global_store_b32 v[3:4], v1, off
	s_and_not1_b32 exec_lo, exec_lo, s14
	s_cbranch_execnz .LBB1_6
; %bb.7:
	s_or_b32 exec_lo, exec_lo, s14
	s_load_b64 s[2:3], s[2:3], 0x18
	s_load_b64 s[4:5], s[4:5], 0x18
	v_dual_mov_b32 v1, 0 :: v_dual_mov_b32 v0, v31
	s_mov_b32 s8, 0
	.p2align	6
.LBB1_8:                                ; =>This Inner Loop Header: Depth=1
	s_delay_alu instid0(VALU_DEP_1) | instskip(SKIP_1) | instid1(VALU_DEP_1)
	v_lshlrev_b64 v[3:4], 2, v[0:1]
	v_add_nc_u32_e32 v0, s1, v0
	v_cmp_le_u32_e32 vcc_lo, s12, v0
	s_waitcnt lgkmcnt(0)
	s_delay_alu instid0(VALU_DEP_3) | instskip(NEXT) | instid1(VALU_DEP_1)
	v_add_co_u32 v5, s0, s2, v3
	v_add_co_ci_u32_e64 v6, s0, s3, v4, s0
	v_add_co_u32 v3, s0, s4, v3
	s_delay_alu instid0(VALU_DEP_1)
	v_add_co_ci_u32_e64 v4, s0, s5, v4, s0
	s_or_b32 s8, vcc_lo, s8
	global_store_b32 v[5:6], v1, off
	global_store_b32 v[3:4], v1, off
	s_and_not1_b32 exec_lo, exec_lo, s8
	s_cbranch_execnz .LBB1_8
.LBB1_9:
	s_or_b32 exec_lo, exec_lo, s13
	v_lshrrev_b32_e32 v30, 5, v31
	v_and_b32_e32 v139, 31, v31
	s_mov_b32 s0, exec_lo
	s_waitcnt vmcnt(0)
	s_waitcnt_vscnt null, 0x0
	s_barrier
	v_mad_u32_u24 v45, v30, 36, 0x4140
	buffer_gl0_inv
	v_cmpx_gt_u16_e64 9, v139
	s_cbranch_execz .LBB1_11
; %bb.10:
	s_mov_b64 s[2:3], src_shared_base
	v_lshl_add_u32 v0, v139, 2, v45
	v_mov_b32_e32 v1, s3
	v_mov_b32_e32 v3, 0
	flat_store_b32 v[0:1], v3 dlc
	s_waitcnt_vscnt null, 0x0
.LBB1_11:
	s_or_b32 exec_lo, exec_lo, s0
	v_cmp_eq_u16_e64 s5, 0, v139
	v_lshlrev_b32_e32 v36, 2, v30
	v_lshl_add_u32 v47, v30, 3, 0x4480
	s_delay_alu instid0(VALU_DEP_3)
	s_and_saveexec_b32 s0, s5
	s_cbranch_execz .LBB1_13
; %bb.12:
	s_delay_alu instid0(VALU_DEP_2) | instskip(SKIP_2) | instid1(VALU_DEP_2)
	v_dual_mov_b32 v0, 0 :: v_dual_add_nc_u32 v3, 0x4540, v36
	s_mov_b64 s[2:3], src_shared_base
	v_or_b32_e32 v5, 0x4500, v36
	v_dual_mov_b32 v4, s3 :: v_dual_mov_b32 v1, v0
	v_mov_b32_e32 v48, s3
	v_mov_b32_e32 v6, s3
	flat_store_b64 v[47:48], v[0:1] dlc
	s_waitcnt_vscnt null, 0x0
	flat_store_b32 v[5:6], v0 dlc
	s_waitcnt_vscnt null, 0x0
	flat_store_b32 v[3:4], v0 dlc
	s_waitcnt_vscnt null, 0x0
.LBB1_13:
	s_or_b32 exec_lo, exec_lo, s0
	v_lshl_add_u32 v39, s28, 4, v30
	v_or_b32_e32 v49, 0x4580, v30
	s_and_saveexec_b32 s0, s5
	s_cbranch_execz .LBB1_15
; %bb.14:
	s_getpc_b64 s[2:3]
	s_add_u32 s2, s2, MT_params@rel32@lo+4
	s_addc_u32 s3, s3, MT_params@rel32@hi+12
	v_mov_b32_e32 v40, 0
	s_load_b64 s[2:3], s[2:3], 0x0
	s_delay_alu instid0(VALU_DEP_1) | instskip(SKIP_1) | instid1(VALU_DEP_1)
	v_lshlrev_b64 v[0:1], 4, v[39:40]
	s_waitcnt lgkmcnt(0)
	v_add_co_u32 v0, vcc_lo, s2, v0
	s_delay_alu instid0(VALU_DEP_2) | instskip(SKIP_1) | instid1(SALU_CYCLE_1)
	v_add_co_ci_u32_e32 v1, vcc_lo, s3, v1, vcc_lo
	s_mov_b64 s[2:3], src_shared_base
	v_mov_b32_e32 v50, s3
	global_load_b128 v[3:6], v[0:1], off
	v_lshlrev_b32_e32 v0, 4, v30
	s_delay_alu instid0(VALU_DEP_1)
	v_add_nc_u32_e32 v1, 0x4388, v0
	v_add_nc_u32_e32 v0, 0x4380, v0
	s_waitcnt vmcnt(0)
	ds_store_2addr_b32 v1, v5, v6 offset1:1
	ds_store_2addr_b32 v0, v3, v4 offset1:1
	flat_store_b8 v[49:50], v40 dlc
	s_waitcnt_vscnt null, 0x0
.LBB1_15:
	s_or_b32 exec_lo, exec_lo, s0
	s_getpc_b64 s[0:1]
	s_add_u32 s0, s0, MT_statuses@rel32@lo+4
	s_addc_u32 s1, s1, MT_statuses@rel32@hi+12
	v_dual_mov_b32 v1, 0 :: v_dual_lshlrev_b32 v142, 2, v139
	s_load_b64 s[0:1], s[0:1], 0x0
	v_mov_b32_e32 v5, v139
	s_mov_b32 s2, 0
	s_delay_alu instid0(VALU_DEP_2) | instskip(NEXT) | instid1(VALU_DEP_1)
	v_mad_u32_u24 v140, 0x194, v30, v142
	v_dual_mov_b32 v4, v140 :: v_dual_lshlrev_b32 v3, 7, v39
	.p2align	6
.LBB1_16:                               ; =>This Inner Loop Header: Depth=1
	s_delay_alu instid0(VALU_DEP_1) | instskip(NEXT) | instid1(VALU_DEP_1)
	v_add_nc_u32_e32 v0, v3, v5
	v_lshlrev_b64 v[6:7], 2, v[0:1]
	s_waitcnt lgkmcnt(0)
	s_delay_alu instid0(VALU_DEP_1) | instskip(NEXT) | instid1(VALU_DEP_2)
	v_add_co_u32 v6, vcc_lo, s0, v6
	v_add_co_ci_u32_e32 v7, vcc_lo, s1, v7, vcc_lo
	v_cmp_lt_u32_e32 vcc_lo, 0x44, v5
	global_load_b32 v0, v[6:7], off
	v_add_nc_u32_e32 v6, 32, v5
	s_or_b32 s2, vcc_lo, s2
	s_delay_alu instid0(VALU_DEP_1)
	v_mov_b32_e32 v5, v6
	s_waitcnt vmcnt(0)
	ds_store_b32 v4, v0
	v_add_nc_u32_e32 v4, 0x80, v4
	s_and_not1_b32 exec_lo, exec_lo, s2
	s_cbranch_execnz .LBB1_16
; %bb.17:
	s_or_b32 exec_lo, exec_lo, s2
	s_load_b32 s0, s[6:7], 0x0
	v_dual_mov_b32 v40, 0 :: v_dual_and_b32 v3, 0xffff, v139
	v_lshlrev_b32_e32 v141, 7, v30
	s_mov_b32 s35, 0
	s_delay_alu instid0(VALU_DEP_2) | instskip(NEXT) | instid1(VALU_DEP_2)
	v_lshlrev_b64 v[0:1], 7, v[39:40]
	v_add_nc_u32_e32 v51, 0x3940, v141
	s_waitcnt lgkmcnt(0)
	s_bitcmp1_b32 s0, 0
	s_cselect_b32 s10, -1, 0
	s_bitcmp1_b32 s0, 8
	s_cselect_b32 s33, -1, 0
	s_getpc_b64 s[0:1]
	s_add_u32 s0, s0, MT_tables@rel32@lo+4
	s_addc_u32 s1, s1, MT_tables@rel32@hi+12
	s_add_u32 s8, s6, 8
	s_load_b64 s[0:1], s[0:1], 0x0
	s_addc_u32 s9, s7, 0
	s_waitcnt lgkmcnt(0)
	v_add_co_u32 v0, vcc_lo, s0, v0
	v_add_co_ci_u32_e32 v1, vcc_lo, s1, v1, vcc_lo
	s_mov_b64 s[0:1], src_shared_base
	s_delay_alu instid0(SALU_CYCLE_1) | instskip(SKIP_3) | instid1(VALU_DEP_1)
	v_dual_mov_b32 v46, s1 :: v_dual_lshlrev_b32 v3, 2, v3
	s_getpc_b64 s[0:1]
	s_add_u32 s0, s0, _Z17MT_generate_arrayv@rel32@lo+4
	s_addc_u32 s1, s1, _Z17MT_generate_arrayv@rel32@hi+12
	v_add_co_u32 v0, vcc_lo, v0, v3
	v_add_co_ci_u32_e32 v1, vcc_lo, 0, v1, vcc_lo
	global_load_b32 v0, v[0:1], off
	v_and_b32_e32 v1, 0xffff, v2
	s_delay_alu instid0(VALU_DEP_1)
	v_mad_u64_u32 v[23:24], null, s28, v1, v[31:32]
	v_or_b32_e32 v1, v141, v142
	s_waitcnt vmcnt(0)
	ds_store_b32 v1, v0 offset:12608
	s_swappc_b64 s[30:31], s[0:1]
	s_getpc_b64 s[8:9]
	s_add_u32 s8, s8, stack@rel32@lo+4
	s_addc_u32 s9, s9, stack@rel32@hi+12
	v_dual_mov_b32 v24, v40 :: v_dual_add_nc_u32 v55, 0x4540, v36
	s_clause 0x1
	s_load_b128 s[0:3], s[8:9], 0x0
	s_load_b64 s[8:9], s[8:9], 0x10
	v_dual_mov_b32 v56, v46 :: v_dual_add_nc_u32 v57, 8, v45
	v_lshlrev_b64 v[0:1], 4, v[23:24]
	v_dual_mov_b32 v58, v46 :: v_dual_add_nc_u32 v61, v51, v142
	v_or_b32_e32 v59, 0x4500, v36
	v_dual_mov_b32 v60, v46 :: v_dual_add_nc_u32 v63, 28, v45
	v_dual_mov_b32 v62, v46 :: v_dual_add_nc_u32 v65, 4, v45
	;; [unrolled: 1-line block ×6, first 2 shown]
	s_waitcnt lgkmcnt(0)
	v_add_co_u32 v41, vcc_lo, s0, v0
	v_add_co_ci_u32_e32 v42, vcc_lo, s1, v1, vcc_lo
	v_add_co_u32 v43, vcc_lo, s2, v0
	v_add_co_ci_u32_e32 v44, vcc_lo, s3, v1, vcc_lo
	v_add_co_u32 v53, vcc_lo, s8, v0
	global_load_b128 v[23:26], v[41:42], off
	global_load_b128 v[32:35], v[43:44], off
	v_add_co_ci_u32_e32 v54, vcc_lo, s9, v1, vcc_lo
	s_getpc_b64 s[2:3]
	s_add_u32 s2, s2, phantom@rel32@lo+4
	s_addc_u32 s3, s3, phantom@rel32@hi+12
	s_getpc_b64 s[8:9]
	s_add_u32 s8, s8, phantom@rel32@lo+20
	s_addc_u32 s9, s9, phantom@rel32@hi+28
	s_clause 0x1
	s_load_b128 s[12:15], s[2:3], 0x0
	s_load_b128 s[16:19], s[8:9], 0x0
	global_load_b96 v[27:29], v[53:54], off
	s_getpc_b64 s[20:21]
	s_add_u32 s20, s20, region_data@rel32@lo+4
	s_addc_u32 s21, s21, region_data@rel32@hi+12
	s_getpc_b64 s[22:23]
	s_add_u32 s22, s22, ge@rel32@lo+4
	s_addc_u32 s23, s23, ge@rel32@hi+12
	s_getpc_b64 s[24:25]
	s_add_u32 s24, s24, gmfp@rel32@lo+4
	s_addc_u32 s25, s25, gmfp@rel32@hi+12
	s_load_b64 s[48:49], s[8:9], 0x10
	s_load_b64 s[50:51], s[20:21], 0x0
	;; [unrolled: 1-line block ×4, first 2 shown]
	s_getpc_b64 s[0:1]
	s_add_u32 s0, s0, cohe@rel32@lo+4
	s_addc_u32 s1, s1, cohe@rel32@hi+12
	s_waitcnt lgkmcnt(0)
	s_mov_b32 s15, s35
	s_load_b64 s[60:61], s[0:1], 0x0
	v_dual_mov_b32 v72, v46 :: v_dual_add_nc_u32 v75, 0x3944, v141
	v_dual_mov_b32 v74, v46 :: v_dual_add_nc_u32 v77, 0x3948, v141
	;; [unrolled: 1-line block ×5, first 2 shown]
	s_mov_b32 s34, s12
	s_mul_i32 s78, s13, s12
	s_lshl_b64 s[2:3], s[34:35], 2
	s_mov_b32 s34, s13
	s_add_u32 s56, s16, s2
	s_addc_u32 s57, s17, s3
	s_lshl_b64 s[2:3], s[34:35], 2
	s_add_i32 s34, s12, -1
	s_add_u32 s58, s18, s2
	s_addc_u32 s59, s19, s3
	s_cmp_eq_u32 s13, 1
	v_cvt_f32_u32_e32 v1, s78
	s_cselect_b32 s79, -1, 0
	s_cmp_lt_i32 s13, 2
	v_cvt_f32_u32_e32 v0, s12
	s_cselect_b32 s80, -1, 0
	s_lshl_b64 s[2:3], s[14:15], 2
	v_rcp_iflag_f32_e32 v1, v1
	s_add_u32 s62, s48, s2
	s_addc_u32 s63, s49, s3
	s_cmp_eq_u32 s14, 1
	v_rcp_iflag_f32_e32 v0, v0
	s_cselect_b32 s15, -1, 0
	s_cmp_lt_i32 s14, 2
	v_mov_b32_e32 v132, v46
	s_cselect_b32 s81, -1, 0
	s_add_i32 s82, s13, -1
	s_waitcnt_depctr 0xfff
	v_mul_f32_e32 v1, 0x4f7ffffe, v1
	s_cmp_eq_u32 s12, 1
	v_dual_mov_b32 v80, v46 :: v_dual_add_nc_u32 v85, 0x3958, v141
	s_cselect_b32 s83, -1, 0
	s_cmp_lt_i32 s12, 2
	v_cvt_u32_f32_e32 v1, v1
	s_cselect_b32 s84, -1, 0
	s_getpc_b64 s[0:1]
	s_add_u32 s0, s0, detector@rel32@lo+4
	s_addc_u32 s1, s1, detector@rel32@hi+12
	s_getpc_b64 s[2:3]
	s_add_u32 s2, s2, detector@rel32@lo+20
	s_addc_u32 s3, s3, detector@rel32@hi+28
	s_getpc_b64 s[8:9]
	s_add_u32 s8, s8, gbr1@rel32@lo+4
	s_addc_u32 s9, s9, gbr1@rel32@hi+12
	s_getpc_b64 s[30:31]
	s_add_u32 s30, s30, gbr2@rel32@lo+4
	s_addc_u32 s31, s31, gbr2@rel32@hi+12
	s_add_i32 s85, s14, -1
	s_getpc_b64 s[40:41]
	s_add_u32 s40, s40, source@rel32@lo+4
	s_addc_u32 s41, s41, source@rel32@hi+12
	s_getpc_b64 s[42:43]
	s_add_u32 s42, s42, source@rel32@lo+12
	s_addc_u32 s43, s43, source@rel32@hi+20
	;; [unrolled: 3-line block ×3, first 2 shown]
	s_clause 0x1
	s_load_b128 s[20:23], s[0:1], 0x0
	s_load_b128 s[24:27], s[2:3], 0x0
	s_clause 0x1
	s_load_b64 s[64:65], s[42:43], 0x10
	s_load_b128 s[36:39], s[44:45], 0x0
	s_getpc_b64 s[46:47]
	s_add_u32 s46, s46, source@rel32@lo+68
	s_addc_u32 s47, s47, source@rel32@hi+76
	s_getpc_b64 s[74:75]
	s_add_u32 s74, s74, pmax@rel32@lo+4
	s_addc_u32 s75, s75, pmax@rel32@hi+12
	s_getpc_b64 s[76:77]
	s_add_u32 s76, s76, i_array@rel32@lo+4
	s_addc_u32 s77, s77, i_array@rel32@hi+12
	s_getpc_b64 s[72:73]
	s_add_u32 s72, s72, rayleigh_data@rel32@lo+4
	s_addc_u32 s73, s73, rayleigh_data@rel32@hi+12
	s_sub_i32 s4, 0, s78
	s_load_b32 s0, s[40:41], 0x0
	v_mul_lo_u32 v2, s4, v1
	s_sub_i32 s11, 0, s12
	s_load_b64 s[66:67], s[8:9], 0x0
	s_load_b64 s[68:69], s[30:31], 0x0
	s_clause 0x2
	s_load_b128 s[40:43], s[42:43], 0x0
	s_load_b64 s[70:71], s[44:45], 0x10
	s_load_b128 s[44:47], s[46:47], 0x0
	s_load_b64 s[72:73], s[72:73], 0x0
	s_load_b64 s[74:75], s[74:75], 0x0
	;; [unrolled: 1-line block ×3, first 2 shown]
	s_add_u32 s86, s16, 4
	s_waitcnt lgkmcnt(0)
	s_addc_u32 s23, s17, 0
	s_add_u32 s87, s18, 4
	v_mul_hi_u32 v2, v1, v2
	v_mov_b32_e32 v134, v46
	s_addc_u32 s88, s19, 0
	v_dual_mov_b32 v82, v46 :: v_dual_add_nc_u32 v87, 0x395c, v141
	v_sub_f32_e64 v146, s39, s38
	v_mul_f32_e32 v0, 0x4f7ffffe, v0
	v_dual_mov_b32 v84, v46 :: v_dual_add_nc_u32 v89, 0x3960, v141
	v_add_nc_u32_e32 v145, v1, v2
	s_delay_alu instid0(VALU_DEP_4) | instskip(NEXT) | instid1(VALU_DEP_4)
	v_mul_f32_e32 v151, v146, v146
	v_cvt_u32_f32_e32 v0, v0
	v_cvt_f32_u32_e32 v1, s26
	v_cvt_f32_u32_e32 v2, s27
	v_dual_mov_b32 v86, v46 :: v_dual_add_nc_u32 v91, 0x3964, v141
	s_delay_alu instid0(VALU_DEP_4)
	v_mul_lo_u32 v3, s11, v0
	v_dual_mov_b32 v88, v46 :: v_dual_add_nc_u32 v93, 0x3968, v141
	v_dual_mov_b32 v90, v46 :: v_dual_add_nc_u32 v95, 0x396c, v141
	;; [unrolled: 1-line block ×4, first 2 shown]
	v_mul_hi_u32 v3, v0, v3
	v_dual_mov_b32 v96, v46 :: v_dual_add_nc_u32 v101, 0x3978, v141
	v_dual_mov_b32 v98, v46 :: v_dual_add_nc_u32 v103, 0x397c, v141
	;; [unrolled: 1-line block ×19, first 2 shown]
	v_dual_mov_b32 v50, v46 :: v_dual_mul_f32 v149, 0.5, v1
	s_add_u32 s47, s48, 4
	v_cvt_f32_u32_e32 v148, s0
	v_mul_f32_e32 v150, 0.5, v2
	s_addc_u32 s39, s49, 0
	s_add_u32 s89, s72, 20
	s_addc_u32 s90, s73, 0
	v_mov_b32_e32 v48, v46
	s_waitcnt vmcnt(2)
	v_mov_b32_e32 v39, v26
	v_lshrrev_b32_e32 v26, 8, v23
	v_lshrrev_b32_e32 v144, 16, v23
	v_cndmask_b32_e64 v138, v23, 7, s10
	s_waitcnt vmcnt(1)
	v_mov_b32_e32 v143, v33
	s_branch .LBB1_19
.LBB1_18:                               ;   in Loop: Header=BB1_19 Depth=1
	s_add_i32 s35, s35, 1
	s_delay_alu instid0(VALU_DEP_1) | instskip(SKIP_2) | instid1(SALU_CYCLE_1)
	v_mov_b32_e32 v23, v33
	s_cmpk_eq_u32 s35, 0x8000
	s_cselect_b32 s91, -1, 0
	s_and_not1_b32 vcc_lo, exec_lo, s91
	s_cbranch_vccz .LBB1_397
.LBB1_19:                               ; =>This Loop Header: Depth=1
                                        ;     Child Loop BB1_80 Depth 2
                                        ;     Child Loop BB1_87 Depth 2
	;; [unrolled: 1-line block ×20, first 2 shown]
                                        ;       Child Loop BB1_352 Depth 3
                                        ;         Child Loop BB1_361 Depth 4
	s_and_saveexec_b32 s0, s5
	s_cbranch_execz .LBB1_21
; %bb.20:                               ;   in Loop: Header=BB1_19 Depth=1
	flat_load_b32 v0, v[55:56] glc dlc
	s_waitcnt vmcnt(0) lgkmcnt(0)
	v_add_nc_u32_e32 v0, 1, v0
	flat_store_b32 v[55:56], v0 dlc
	s_waitcnt_vscnt null, 0x0
.LBB1_21:                               ;   in Loop: Header=BB1_19 Depth=1
	s_or_b32 exec_lo, exec_lo, s0
	v_and_b32_e32 v0, 0xff, v138
	s_delay_alu instid0(VALU_DEP_1) | instskip(SKIP_2) | instid1(VALU_DEP_1)
	v_cmp_ne_u16_e32 vcc_lo, 8, v0
	s_or_b32 vcc_lo, vcc_lo, s33
	v_cndmask_b32_e32 v138, 7, v138, vcc_lo
	v_and_b32_e32 v0, 0xff, v138
	s_delay_alu instid0(VALU_DEP_1) | instskip(NEXT) | instid1(VALU_DEP_1)
	v_cmp_eq_u16_e64 s10, 2, v0
	v_cndmask_b32_e64 v33, 0, 1, s10
	s_delay_alu instid0(VALU_DEP_1) | instskip(SKIP_1) | instid1(VALU_DEP_1)
	v_mov_b32_e32 v0, v33
	;;#ASMSTART
	;;#ASMEND
	v_cmp_ne_u32_e32 vcc_lo, 0, v0
	s_cbranch_vccz .LBB1_173
; %bb.22:                               ;   in Loop: Header=BB1_19 Depth=1
	v_lshlrev_b64 v[0:1], 4, v[39:40]
	s_delay_alu instid0(VALU_DEP_1) | instskip(NEXT) | instid1(VALU_DEP_2)
	v_add_co_u32 v0, vcc_lo, s50, v0
	v_add_co_ci_u32_e32 v1, vcc_lo, s51, v1, vcc_lo
	global_load_b96 v[36:38], v[0:1], off
	s_and_saveexec_b32 s0, s10
	s_cbranch_execz .LBB1_28
; %bb.23:                               ;   in Loop: Header=BB1_19 Depth=1
	v_mov_b32_e32 v138, 0
	s_mov_b32 s1, exec_lo
	s_waitcnt vmcnt(0)
	v_cmpx_nle_f32_e32 v24, v38
	s_cbranch_execz .LBB1_27
; %bb.24:                               ;   in Loop: Header=BB1_19 Depth=1
	v_mov_b32_e32 v138, 2
	s_mov_b32 s2, exec_lo
	v_cmpx_ge_f32_e32 0, v25
; %bb.25:                               ;   in Loop: Header=BB1_19 Depth=1
	v_mov_b32_e32 v138, 1
; %bb.26:                               ;   in Loop: Header=BB1_19 Depth=1
	s_or_b32 exec_lo, exec_lo, s2
.LBB1_27:                               ;   in Loop: Header=BB1_19 Depth=1
	s_delay_alu instid0(SALU_CYCLE_1)
	s_or_b32 exec_lo, exec_lo, s1
.LBB1_28:                               ;   in Loop: Header=BB1_19 Depth=1
	s_delay_alu instid0(SALU_CYCLE_1)
	s_or_b32 exec_lo, exec_lo, s0
	flat_load_u8 v0, v[49:50] glc dlc
	s_waitcnt vmcnt(0) lgkmcnt(0)
	v_cmp_lt_u32_e32 vcc_lo, 1, v0
	v_add_nc_u32_e32 v0, 1, v0
	s_and_saveexec_b32 s11, vcc_lo
	s_cbranch_execz .LBB1_30
; %bb.29:                               ;   in Loop: Header=BB1_19 Depth=1
	s_add_u32 s8, s6, 8
	s_addc_u32 s9, s7, 0
	s_getpc_b64 s[0:1]
	s_add_u32 s0, s0, _Z17MT_generate_arrayv@rel32@lo+4
	s_addc_u32 s1, s1, _Z17MT_generate_arrayv@rel32@hi+12
	s_delay_alu instid0(SALU_CYCLE_1)
	s_swappc_b64 s[30:31], s[0:1]
	v_mov_b32_e32 v0, 0
.LBB1_30:                               ;   in Loop: Header=BB1_19 Depth=1
	s_or_b32 exec_lo, exec_lo, s11
	s_and_saveexec_b32 s0, s5
	s_cbranch_execz .LBB1_32
; %bb.31:                               ;   in Loop: Header=BB1_19 Depth=1
	flat_store_b8 v[49:50], v0 dlc
	s_waitcnt_vscnt null, 0x0
.LBB1_32:                               ;   in Loop: Header=BB1_19 Depth=1
	s_or_b32 exec_lo, exec_lo, s0
	v_lshl_or_b32 v0, v0, 7, v142
	v_cmp_gt_f32_e64 s0, 0x800000, v24
	v_lshrrev_b32_e32 v153, 16, v36
	v_mov_b32_e32 v152, 0
	v_mov_b32_e32 v154, v36
	v_mad_u32_u24 v0, 0x180, v30, v0
	v_cndmask_b32_e64 v2, 1.0, 0x4f800000, s0
	v_mov_b32_e32 v137, 0
	ds_load_b32 v0, v0 offset:6464
	s_waitcnt lgkmcnt(0)
	v_cmp_gt_f32_e32 vcc_lo, 0x800000, v0
	v_cndmask_b32_e64 v1, 1.0, 0x4f800000, vcc_lo
	s_delay_alu instid0(VALU_DEP_1) | instskip(NEXT) | instid1(VALU_DEP_1)
	v_mul_f32_e32 v0, v0, v1
	v_log_f32_e32 v0, v0
	s_waitcnt_depctr 0xfff
	v_dual_mul_f32 v1, v24, v2 :: v_dual_mul_f32 v2, 0x3f317217, v0
	s_delay_alu instid0(VALU_DEP_1) | instskip(NEXT) | instid1(VALU_DEP_1)
	v_log_f32_e32 v1, v1
	v_fma_f32 v4, 0x3f317217, v0, -v2
	s_delay_alu instid0(VALU_DEP_1) | instskip(SKIP_2) | instid1(VALU_DEP_1)
	v_fmac_f32_e32 v4, 0x3377d1cf, v0
	s_waitcnt_depctr 0xfff
	v_dual_mul_f32 v3, 0x3f317217, v1 :: v_dual_add_f32 v2, v2, v4
	v_fma_f32 v5, 0x3f317217, v1, -v3
	v_cndmask_b32_e64 v4, 0, 0x41b17218, vcc_lo
	v_cmp_gt_f32_e64 vcc_lo, 0x7f800000, |v0|
	s_delay_alu instid0(VALU_DEP_3) | instskip(SKIP_1) | instid1(VALU_DEP_2)
	v_dual_fmac_f32 v5, 0x3377d1cf, v1 :: v_dual_cndmask_b32 v0, v0, v2
	v_cmp_gt_f32_e64 vcc_lo, 0x7f800000, |v1|
	v_dual_add_f32 v3, v3, v5 :: v_dual_and_b32 v2, 0xff, v138
	v_cndmask_b32_e64 v5, 0, 0x41b17218, s0
	s_delay_alu instid0(VALU_DEP_2) | instskip(NEXT) | instid1(VALU_DEP_3)
	v_dual_cndmask_b32 v1, v1, v3 :: v_dual_sub_f32 v6, v0, v4
	v_cmp_eq_u16_e32 vcc_lo, 2, v2
	s_delay_alu instid0(VALU_DEP_2) | instskip(NEXT) | instid1(VALU_DEP_3)
	v_sub_f32_e32 v23, v1, v5
	v_xor_b32_e32 v5, 0x80000000, v6
	s_and_b32 s0, s10, vcc_lo
	s_delay_alu instid0(SALU_CYCLE_1)
	s_and_saveexec_b32 s3, s0
	s_cbranch_execz .LBB1_156
; %bb.33:                               ;   in Loop: Header=BB1_19 Depth=1
	v_cmp_eq_u16_e64 s0, -1, v36
	v_cmp_ne_u16_e64 s1, -1, v36
	v_dual_mov_b32 v152, 0 :: v_dual_mov_b32 v7, 0
	v_dual_mov_b32 v8, 0x4cbebc20 :: v_dual_mov_b32 v137, 0
	s_delay_alu instid0(VALU_DEP_3)
	s_and_saveexec_b32 s2, s1
	s_cbranch_execz .LBB1_37
; %bb.34:                               ;   in Loop: Header=BB1_19 Depth=1
	v_dual_mov_b32 v137, 0 :: v_dual_and_b32 v2, 0xffff, v36
	s_mov_b32 s4, exec_lo
	s_delay_alu instid0(VALU_DEP_1) | instskip(SKIP_3) | instid1(VALU_DEP_1)
	v_lshlrev_b32_e32 v0, 3, v2
	global_load_b64 v[0:1], v0, s[52:53]
	s_waitcnt vmcnt(0)
	v_fmac_f32_e32 v0, v23, v1
	v_cvt_i32_f32_e32 v152, v0
	s_delay_alu instid0(VALU_DEP_1) | instskip(NEXT) | instid1(VALU_DEP_1)
	v_mad_u32_u24 v0, 0xc8, v2, v152
	v_ashrrev_i32_e32 v1, 31, v0
	s_delay_alu instid0(VALU_DEP_1) | instskip(NEXT) | instid1(VALU_DEP_1)
	v_lshlrev_b64 v[0:1], 3, v[0:1]
	v_add_co_u32 v2, vcc_lo, s54, v0
	s_delay_alu instid0(VALU_DEP_2) | instskip(SKIP_3) | instid1(VALU_DEP_1)
	v_add_co_ci_u32_e32 v3, vcc_lo, s55, v1, vcc_lo
	global_load_b64 v[2:3], v[2:3], off
	s_waitcnt vmcnt(0)
	v_fmac_f32_e32 v2, v23, v3
	v_div_scale_f32 v3, null, v37, v37, v2
	v_div_scale_f32 v8, vcc_lo, v2, v37, v2
	s_delay_alu instid0(VALU_DEP_2) | instskip(SKIP_2) | instid1(VALU_DEP_1)
	v_rcp_f32_e32 v4, v3
	s_waitcnt_depctr 0xfff
	v_fma_f32 v7, -v3, v4, 1.0
	v_fmac_f32_e32 v4, v7, v4
	s_delay_alu instid0(VALU_DEP_1) | instskip(NEXT) | instid1(VALU_DEP_1)
	v_mul_f32_e32 v7, v8, v4
	v_fma_f32 v9, -v3, v7, v8
	s_delay_alu instid0(VALU_DEP_1) | instskip(NEXT) | instid1(VALU_DEP_1)
	v_fmac_f32_e32 v7, v9, v4
	v_fma_f32 v3, -v3, v7, v8
	v_and_b32_e32 v8, 1, v153
	s_delay_alu instid0(VALU_DEP_2) | instskip(NEXT) | instid1(VALU_DEP_1)
	v_div_fmas_f32 v3, v3, v4, v7
	v_div_fixup_f32 v7, v3, v37, v2
	s_delay_alu instid0(VALU_DEP_3)
	v_cmpx_eq_u32_e32 1, v8
	s_cbranch_execz .LBB1_36
; %bb.35:                               ;   in Loop: Header=BB1_19 Depth=1
	v_add_co_u32 v0, vcc_lo, s60, v0
	v_add_co_ci_u32_e32 v1, vcc_lo, s61, v1, vcc_lo
	global_load_b64 v[137:138], v[0:1], off
	s_waitcnt vmcnt(0)
	v_fmac_f32_e32 v137, v23, v138
	s_delay_alu instid0(VALU_DEP_1)
	v_mul_f32_e32 v7, v7, v137
.LBB1_36:                               ;   in Loop: Header=BB1_19 Depth=1
	s_or_b32 exec_lo, exec_lo, s4
	s_delay_alu instid0(VALU_DEP_1)
	v_mul_f32_e64 v8, v7, -v6
.LBB1_37:                               ;   in Loop: Header=BB1_19 Depth=1
	s_or_b32 exec_lo, exec_lo, s2
	s_delay_alu instid0(SALU_CYCLE_1)
	s_mov_b32 s2, exec_lo
                                        ; implicit-def: $vgpr0
	v_cmpx_ne_u32_e32 0, v39
	s_xor_b32 s2, exec_lo, s2
	s_cbranch_execz .LBB1_69
; %bb.38:                               ;   in Loop: Header=BB1_19 Depth=1
	v_add_nc_u32_e32 v9, -1, v39
	s_mov_b32 s4, exec_lo
	s_delay_alu instid0(VALU_DEP_1) | instskip(NEXT) | instid1(VALU_DEP_1)
	v_mul_hi_u32 v0, v9, v145
	v_mul_lo_u32 v1, v0, s78
	s_delay_alu instid0(VALU_DEP_1) | instskip(NEXT) | instid1(VALU_DEP_1)
	v_sub_nc_u32_e32 v1, v9, v1
	v_subrev_nc_u32_e32 v3, s78, v1
	v_cmp_le_u32_e32 vcc_lo, s78, v1
	s_delay_alu instid0(VALU_DEP_2) | instskip(NEXT) | instid1(VALU_DEP_1)
	v_dual_cndmask_b32 v1, v1, v3 :: v_dual_add_nc_u32 v2, 1, v0
	v_cndmask_b32_e32 v0, v0, v2, vcc_lo
	s_delay_alu instid0(VALU_DEP_2) | instskip(NEXT) | instid1(VALU_DEP_2)
	v_cmp_le_u32_e32 vcc_lo, s78, v1
	v_add_nc_u32_e32 v2, 1, v0
	s_delay_alu instid0(VALU_DEP_1) | instskip(NEXT) | instid1(VALU_DEP_1)
	v_cndmask_b32_e32 v1, v0, v2, vcc_lo
	v_mul_lo_u32 v0, s78, v1
	s_delay_alu instid0(VALU_DEP_1) | instskip(NEXT) | instid1(VALU_DEP_1)
	v_sub_nc_u32_e32 v0, v9, v0
	v_mul_hi_u32 v2, v0, v147
	s_delay_alu instid0(VALU_DEP_1) | instskip(SKIP_1) | instid1(VALU_DEP_2)
	v_mul_lo_u32 v3, v2, s12
	v_add_nc_u32_e32 v4, 1, v2
	v_sub_nc_u32_e32 v3, v0, v3
	s_delay_alu instid0(VALU_DEP_1) | instskip(SKIP_1) | instid1(VALU_DEP_2)
	v_subrev_nc_u32_e32 v10, s12, v3
	v_cmp_le_u32_e32 vcc_lo, s12, v3
	v_dual_cndmask_b32 v2, v2, v4 :: v_dual_cndmask_b32 v3, v3, v10
	s_delay_alu instid0(VALU_DEP_1) | instskip(NEXT) | instid1(VALU_DEP_2)
	v_add_nc_u32_e32 v4, 1, v2
	v_cmp_le_u32_e32 vcc_lo, s12, v3
	s_delay_alu instid0(VALU_DEP_2) | instskip(NEXT) | instid1(VALU_DEP_1)
	v_cndmask_b32_e32 v2, v2, v4, vcc_lo
	v_mul_lo_u32 v3, v2, s12
	s_delay_alu instid0(VALU_DEP_1)
	v_sub_nc_u32_e32 v3, v0, v3
                                        ; implicit-def: $vgpr0
	v_cmpx_nlt_f32_e32 0, v27
	s_xor_b32 s4, exec_lo, s4
	s_cbranch_execz .LBB1_44
; %bb.39:                               ;   in Loop: Header=BB1_19 Depth=1
	v_mov_b32_e32 v0, v39
	s_mov_b32 s8, exec_lo
	v_cmpx_gt_f32_e32 0, v27
	s_cbranch_execz .LBB1_43
; %bb.40:                               ;   in Loop: Header=BB1_19 Depth=1
	v_ashrrev_i32_e32 v4, 31, v3
	s_mov_b32 s9, exec_lo
	s_delay_alu instid0(VALU_DEP_1) | instskip(NEXT) | instid1(VALU_DEP_1)
	v_lshlrev_b64 v[10:11], 2, v[3:4]
	v_add_co_u32 v10, vcc_lo, s16, v10
	s_delay_alu instid0(VALU_DEP_2) | instskip(SKIP_3) | instid1(VALU_DEP_1)
	v_add_co_ci_u32_e32 v11, vcc_lo, s17, v11, vcc_lo
	global_load_b32 v0, v[10:11], off
	s_waitcnt vmcnt(0)
	v_sub_f32_e32 v0, v0, v143
	v_div_scale_f32 v4, null, v27, v27, v0
	v_div_scale_f32 v12, vcc_lo, v0, v27, v0
	s_delay_alu instid0(VALU_DEP_2) | instskip(SKIP_2) | instid1(VALU_DEP_1)
	v_rcp_f32_e32 v10, v4
	s_waitcnt_depctr 0xfff
	v_fma_f32 v11, -v4, v10, 1.0
	v_fmac_f32_e32 v10, v11, v10
	s_delay_alu instid0(VALU_DEP_1) | instskip(NEXT) | instid1(VALU_DEP_1)
	v_mul_f32_e32 v11, v12, v10
	v_fma_f32 v13, -v4, v11, v12
	s_delay_alu instid0(VALU_DEP_1) | instskip(NEXT) | instid1(VALU_DEP_1)
	v_fmac_f32_e32 v11, v13, v10
	v_fma_f32 v4, -v4, v11, v12
	s_delay_alu instid0(VALU_DEP_1) | instskip(NEXT) | instid1(VALU_DEP_1)
	v_div_fmas_f32 v4, v4, v10, v11
	v_div_fixup_f32 v4, v4, v27, v0
	v_mov_b32_e32 v0, v39
	s_delay_alu instid0(VALU_DEP_2)
	v_cmpx_le_f32_e32 v4, v8
; %bb.41:                               ;   in Loop: Header=BB1_19 Depth=1
	v_cmp_lt_i32_e32 vcc_lo, 0, v3
	v_mov_b32_e32 v8, v4
	v_cndmask_b32_e32 v0, 0, v9, vcc_lo
; %bb.42:                               ;   in Loop: Header=BB1_19 Depth=1
	s_or_b32 exec_lo, exec_lo, s9
.LBB1_43:                               ;   in Loop: Header=BB1_19 Depth=1
	s_delay_alu instid0(SALU_CYCLE_1)
	s_or_b32 exec_lo, exec_lo, s8
                                        ; implicit-def: $vgpr3
.LBB1_44:                               ;   in Loop: Header=BB1_19 Depth=1
	s_and_not1_saveexec_b32 s4, s4
	s_cbranch_execz .LBB1_48
; %bb.45:                               ;   in Loop: Header=BB1_19 Depth=1
	v_ashrrev_i32_e32 v4, 31, v3
	s_mov_b32 s8, exec_lo
	s_delay_alu instid0(VALU_DEP_1) | instskip(NEXT) | instid1(VALU_DEP_1)
	v_lshlrev_b64 v[9:10], 2, v[3:4]
	v_add_co_u32 v9, vcc_lo, s86, v9
	s_delay_alu instid0(VALU_DEP_2) | instskip(SKIP_3) | instid1(VALU_DEP_1)
	v_add_co_ci_u32_e32 v10, vcc_lo, s23, v10, vcc_lo
	global_load_b32 v0, v[9:10], off
	s_waitcnt vmcnt(0)
	v_sub_f32_e32 v0, v0, v143
	v_div_scale_f32 v4, null, v27, v27, v0
	s_delay_alu instid0(VALU_DEP_1) | instskip(SKIP_2) | instid1(VALU_DEP_1)
	v_rcp_f32_e32 v9, v4
	s_waitcnt_depctr 0xfff
	v_fma_f32 v10, -v4, v9, 1.0
	v_fmac_f32_e32 v9, v10, v9
	v_div_scale_f32 v11, vcc_lo, v0, v27, v0
	s_delay_alu instid0(VALU_DEP_1) | instskip(NEXT) | instid1(VALU_DEP_1)
	v_mul_f32_e32 v10, v11, v9
	v_fma_f32 v12, -v4, v10, v11
	s_delay_alu instid0(VALU_DEP_1) | instskip(NEXT) | instid1(VALU_DEP_1)
	v_fmac_f32_e32 v10, v12, v9
	v_fma_f32 v4, -v4, v10, v11
	s_delay_alu instid0(VALU_DEP_1) | instskip(NEXT) | instid1(VALU_DEP_1)
	v_div_fmas_f32 v4, v4, v9, v10
	v_div_fixup_f32 v4, v4, v27, v0
	v_mov_b32_e32 v0, v39
	s_delay_alu instid0(VALU_DEP_2)
	v_cmpx_le_f32_e32 v4, v8
; %bb.46:                               ;   in Loop: Header=BB1_19 Depth=1
	v_add_nc_u32_e32 v0, 1, v3
	v_dual_mov_b32 v8, v4 :: v_dual_add_nc_u32 v3, 1, v39
	s_delay_alu instid0(VALU_DEP_2) | instskip(NEXT) | instid1(VALU_DEP_2)
	v_cmp_gt_u32_e32 vcc_lo, s12, v0
	v_cndmask_b32_e32 v0, 0, v3, vcc_lo
; %bb.47:                               ;   in Loop: Header=BB1_19 Depth=1
	s_or_b32 exec_lo, exec_lo, s8
.LBB1_48:                               ;   in Loop: Header=BB1_19 Depth=1
	s_delay_alu instid0(SALU_CYCLE_1) | instskip(NEXT) | instid1(SALU_CYCLE_1)
	s_or_b32 exec_lo, exec_lo, s4
	s_mov_b32 s4, exec_lo
	v_cmpx_nlt_f32_e32 0, v28
	s_xor_b32 s4, exec_lo, s4
	s_cbranch_execz .LBB1_54
; %bb.49:                               ;   in Loop: Header=BB1_19 Depth=1
	s_mov_b32 s8, exec_lo
	v_cmpx_gt_f32_e32 0, v28
	s_cbranch_execz .LBB1_53
; %bb.50:                               ;   in Loop: Header=BB1_19 Depth=1
	v_ashrrev_i32_e32 v3, 31, v2
	s_mov_b32 s9, exec_lo
	s_delay_alu instid0(VALU_DEP_1) | instskip(NEXT) | instid1(VALU_DEP_1)
	v_lshlrev_b64 v[3:4], 2, v[2:3]
	v_add_co_u32 v3, vcc_lo, s18, v3
	s_delay_alu instid0(VALU_DEP_2) | instskip(SKIP_3) | instid1(VALU_DEP_1)
	v_add_co_ci_u32_e32 v4, vcc_lo, s19, v4, vcc_lo
	global_load_b32 v3, v[3:4], off
	s_waitcnt vmcnt(0)
	v_sub_f32_e32 v3, v3, v34
	v_div_scale_f32 v4, null, v28, v28, v3
	s_delay_alu instid0(VALU_DEP_1) | instskip(SKIP_2) | instid1(VALU_DEP_1)
	v_rcp_f32_e32 v9, v4
	s_waitcnt_depctr 0xfff
	v_fma_f32 v10, -v4, v9, 1.0
	v_fmac_f32_e32 v9, v10, v9
	v_div_scale_f32 v10, vcc_lo, v3, v28, v3
	s_delay_alu instid0(VALU_DEP_1) | instskip(NEXT) | instid1(VALU_DEP_1)
	v_mul_f32_e32 v11, v10, v9
	v_fma_f32 v12, -v4, v11, v10
	s_delay_alu instid0(VALU_DEP_1) | instskip(NEXT) | instid1(VALU_DEP_1)
	v_fmac_f32_e32 v11, v12, v9
	v_fma_f32 v4, -v4, v11, v10
	s_delay_alu instid0(VALU_DEP_1) | instskip(NEXT) | instid1(VALU_DEP_1)
	v_div_fmas_f32 v4, v4, v9, v11
	v_div_fixup_f32 v3, v4, v28, v3
	s_delay_alu instid0(VALU_DEP_1)
	v_cmpx_le_f32_e32 v3, v8
; %bb.51:                               ;   in Loop: Header=BB1_19 Depth=1
	v_subrev_nc_u32_e32 v0, s12, v39
	v_cmp_lt_i32_e32 vcc_lo, 0, v2
	v_mov_b32_e32 v8, v3
	s_delay_alu instid0(VALU_DEP_3)
	v_cndmask_b32_e32 v0, 0, v0, vcc_lo
; %bb.52:                               ;   in Loop: Header=BB1_19 Depth=1
	s_or_b32 exec_lo, exec_lo, s9
.LBB1_53:                               ;   in Loop: Header=BB1_19 Depth=1
	s_delay_alu instid0(SALU_CYCLE_1)
	s_or_b32 exec_lo, exec_lo, s8
                                        ; implicit-def: $vgpr2
.LBB1_54:                               ;   in Loop: Header=BB1_19 Depth=1
	s_and_not1_saveexec_b32 s4, s4
	s_cbranch_execz .LBB1_58
; %bb.55:                               ;   in Loop: Header=BB1_19 Depth=1
	v_ashrrev_i32_e32 v3, 31, v2
	s_mov_b32 s8, exec_lo
	s_delay_alu instid0(VALU_DEP_1) | instskip(NEXT) | instid1(VALU_DEP_1)
	v_lshlrev_b64 v[3:4], 2, v[2:3]
	v_add_co_u32 v3, vcc_lo, s87, v3
	s_delay_alu instid0(VALU_DEP_2) | instskip(SKIP_3) | instid1(VALU_DEP_1)
	v_add_co_ci_u32_e32 v4, vcc_lo, s88, v4, vcc_lo
	global_load_b32 v3, v[3:4], off
	s_waitcnt vmcnt(0)
	v_sub_f32_e32 v3, v3, v34
	v_div_scale_f32 v4, null, v28, v28, v3
	s_delay_alu instid0(VALU_DEP_1) | instskip(SKIP_2) | instid1(VALU_DEP_1)
	v_rcp_f32_e32 v9, v4
	s_waitcnt_depctr 0xfff
	v_fma_f32 v10, -v4, v9, 1.0
	v_fmac_f32_e32 v9, v10, v9
	v_div_scale_f32 v10, vcc_lo, v3, v28, v3
	s_delay_alu instid0(VALU_DEP_1) | instskip(NEXT) | instid1(VALU_DEP_1)
	v_mul_f32_e32 v11, v10, v9
	v_fma_f32 v12, -v4, v11, v10
	s_delay_alu instid0(VALU_DEP_1) | instskip(NEXT) | instid1(VALU_DEP_1)
	v_fmac_f32_e32 v11, v12, v9
	v_fma_f32 v4, -v4, v11, v10
	s_delay_alu instid0(VALU_DEP_1) | instskip(NEXT) | instid1(VALU_DEP_1)
	v_div_fmas_f32 v4, v4, v9, v11
	v_div_fixup_f32 v3, v4, v28, v3
	s_delay_alu instid0(VALU_DEP_1)
	v_cmpx_le_f32_e32 v3, v8
; %bb.56:                               ;   in Loop: Header=BB1_19 Depth=1
	v_add_nc_u32_e32 v0, 1, v2
	v_add_nc_u32_e32 v2, s12, v39
	v_mov_b32_e32 v8, v3
	s_delay_alu instid0(VALU_DEP_3) | instskip(NEXT) | instid1(VALU_DEP_3)
	v_cmp_gt_u32_e32 vcc_lo, s13, v0
	v_cndmask_b32_e32 v0, 0, v2, vcc_lo
; %bb.57:                               ;   in Loop: Header=BB1_19 Depth=1
	s_or_b32 exec_lo, exec_lo, s8
.LBB1_58:                               ;   in Loop: Header=BB1_19 Depth=1
	s_delay_alu instid0(SALU_CYCLE_1) | instskip(NEXT) | instid1(SALU_CYCLE_1)
	s_or_b32 exec_lo, exec_lo, s4
	s_mov_b32 s4, exec_lo
	v_cmpx_nlt_f32_e32 0, v29
	s_xor_b32 s4, exec_lo, s4
	s_cbranch_execz .LBB1_64
; %bb.59:                               ;   in Loop: Header=BB1_19 Depth=1
	s_mov_b32 s8, exec_lo
	v_cmpx_gt_f32_e32 0, v29
	s_cbranch_execz .LBB1_63
; %bb.60:                               ;   in Loop: Header=BB1_19 Depth=1
	v_ashrrev_i32_e32 v2, 31, v1
	s_mov_b32 s9, exec_lo
	s_delay_alu instid0(VALU_DEP_1) | instskip(NEXT) | instid1(VALU_DEP_1)
	v_lshlrev_b64 v[2:3], 2, v[1:2]
	v_add_co_u32 v2, vcc_lo, s48, v2
	s_delay_alu instid0(VALU_DEP_2) | instskip(SKIP_3) | instid1(VALU_DEP_1)
	v_add_co_ci_u32_e32 v3, vcc_lo, s49, v3, vcc_lo
	global_load_b32 v2, v[2:3], off
	s_waitcnt vmcnt(0)
	v_sub_f32_e32 v2, v2, v35
	v_div_scale_f32 v3, null, v29, v29, v2
	s_delay_alu instid0(VALU_DEP_1) | instskip(SKIP_2) | instid1(VALU_DEP_1)
	v_rcp_f32_e32 v4, v3
	s_waitcnt_depctr 0xfff
	v_fma_f32 v9, -v3, v4, 1.0
	v_fmac_f32_e32 v4, v9, v4
	v_div_scale_f32 v9, vcc_lo, v2, v29, v2
	s_delay_alu instid0(VALU_DEP_1) | instskip(NEXT) | instid1(VALU_DEP_1)
	v_mul_f32_e32 v10, v9, v4
	v_fma_f32 v11, -v3, v10, v9
	s_delay_alu instid0(VALU_DEP_1) | instskip(NEXT) | instid1(VALU_DEP_1)
	v_fmac_f32_e32 v10, v11, v4
	v_fma_f32 v3, -v3, v10, v9
	s_delay_alu instid0(VALU_DEP_1) | instskip(NEXT) | instid1(VALU_DEP_1)
	v_div_fmas_f32 v3, v3, v4, v10
	v_div_fixup_f32 v2, v3, v29, v2
	s_delay_alu instid0(VALU_DEP_1)
	v_cmpx_le_f32_e32 v2, v8
; %bb.61:                               ;   in Loop: Header=BB1_19 Depth=1
	v_subrev_nc_u32_e32 v0, s78, v39
	v_cmp_lt_i32_e32 vcc_lo, 0, v1
	v_mov_b32_e32 v8, v2
	s_delay_alu instid0(VALU_DEP_3)
	v_cndmask_b32_e32 v0, 0, v0, vcc_lo
; %bb.62:                               ;   in Loop: Header=BB1_19 Depth=1
	s_or_b32 exec_lo, exec_lo, s9
.LBB1_63:                               ;   in Loop: Header=BB1_19 Depth=1
	s_delay_alu instid0(SALU_CYCLE_1)
	s_or_b32 exec_lo, exec_lo, s8
                                        ; implicit-def: $vgpr1
.LBB1_64:                               ;   in Loop: Header=BB1_19 Depth=1
	s_and_not1_saveexec_b32 s4, s4
	s_cbranch_execz .LBB1_68
; %bb.65:                               ;   in Loop: Header=BB1_19 Depth=1
	v_ashrrev_i32_e32 v2, 31, v1
	s_mov_b32 s8, exec_lo
	s_delay_alu instid0(VALU_DEP_1) | instskip(NEXT) | instid1(VALU_DEP_1)
	v_lshlrev_b64 v[2:3], 2, v[1:2]
	v_add_co_u32 v2, vcc_lo, s47, v2
	s_delay_alu instid0(VALU_DEP_2) | instskip(SKIP_3) | instid1(VALU_DEP_1)
	v_add_co_ci_u32_e32 v3, vcc_lo, s39, v3, vcc_lo
	global_load_b32 v2, v[2:3], off
	s_waitcnt vmcnt(0)
	v_sub_f32_e32 v2, v2, v35
	v_div_scale_f32 v3, null, v29, v29, v2
	s_delay_alu instid0(VALU_DEP_1) | instskip(SKIP_2) | instid1(VALU_DEP_1)
	v_rcp_f32_e32 v4, v3
	s_waitcnt_depctr 0xfff
	v_fma_f32 v9, -v3, v4, 1.0
	v_fmac_f32_e32 v4, v9, v4
	v_div_scale_f32 v9, vcc_lo, v2, v29, v2
	s_delay_alu instid0(VALU_DEP_1) | instskip(NEXT) | instid1(VALU_DEP_1)
	v_mul_f32_e32 v10, v9, v4
	v_fma_f32 v11, -v3, v10, v9
	s_delay_alu instid0(VALU_DEP_1) | instskip(NEXT) | instid1(VALU_DEP_1)
	v_fmac_f32_e32 v10, v11, v4
	v_fma_f32 v3, -v3, v10, v9
	s_delay_alu instid0(VALU_DEP_1) | instskip(NEXT) | instid1(VALU_DEP_1)
	v_div_fmas_f32 v3, v3, v4, v10
	v_div_fixup_f32 v2, v3, v29, v2
	s_delay_alu instid0(VALU_DEP_1)
	v_cmpx_le_f32_e32 v2, v8
; %bb.66:                               ;   in Loop: Header=BB1_19 Depth=1
	v_add_nc_u32_e32 v0, 1, v1
	v_dual_mov_b32 v8, v2 :: v_dual_add_nc_u32 v1, s78, v39
	s_delay_alu instid0(VALU_DEP_2) | instskip(NEXT) | instid1(VALU_DEP_2)
	v_cmp_gt_u32_e32 vcc_lo, s14, v0
	v_cndmask_b32_e32 v0, 0, v1, vcc_lo
; %bb.67:                               ;   in Loop: Header=BB1_19 Depth=1
	s_or_b32 exec_lo, exec_lo, s8
.LBB1_68:                               ;   in Loop: Header=BB1_19 Depth=1
	s_delay_alu instid0(SALU_CYCLE_1)
	s_or_b32 exec_lo, exec_lo, s4
.LBB1_69:                               ;   in Loop: Header=BB1_19 Depth=1
	s_and_not1_saveexec_b32 s4, s2
	s_cbranch_execz .LBB1_147
; %bb.70:                               ;   in Loop: Header=BB1_19 Depth=1
	global_load_b32 v3, v40, s[16:17]
	v_cmp_nlt_f32_e64 s2, 0, v27
                                        ; implicit-def: $vgpr9
                                        ; implicit-def: $vgpr2
	s_waitcnt vmcnt(0)
	v_cmp_nle_f32_e32 vcc_lo, v143, v3
	s_delay_alu instid0(VALU_DEP_2) | instskip(NEXT) | instid1(SALU_CYCLE_1)
	s_or_b32 s2, vcc_lo, s2
	s_and_saveexec_b32 s8, s2
	s_delay_alu instid0(SALU_CYCLE_1)
	s_xor_b32 s8, exec_lo, s8
	s_cbranch_execz .LBB1_74
; %bb.71:                               ;   in Loop: Header=BB1_19 Depth=1
	global_load_b32 v0, v40, s[56:57]
	v_cmp_gt_f32_e64 s2, 0, v27
	v_mov_b32_e32 v9, -1
                                        ; implicit-def: $vgpr2
	s_waitcnt vmcnt(0)
	v_cmp_ge_f32_e32 vcc_lo, v143, v0
	s_delay_alu instid0(VALU_DEP_3) | instskip(NEXT) | instid1(SALU_CYCLE_1)
	s_and_b32 s9, vcc_lo, s2
	s_and_saveexec_b32 s2, s9
	s_cbranch_execz .LBB1_73
; %bb.72:                               ;   in Loop: Header=BB1_19 Depth=1
	v_sub_f32_e32 v0, v0, v143
	s_delay_alu instid0(VALU_DEP_1) | instskip(SKIP_1) | instid1(VALU_DEP_2)
	v_div_scale_f32 v1, null, v27, v27, v0
	v_div_scale_f32 v9, vcc_lo, v0, v27, v0
	v_rcp_f32_e32 v2, v1
	s_waitcnt_depctr 0xfff
	v_fma_f32 v4, -v1, v2, 1.0
	s_delay_alu instid0(VALU_DEP_1) | instskip(NEXT) | instid1(VALU_DEP_1)
	v_fmac_f32_e32 v2, v4, v2
	v_mul_f32_e32 v4, v9, v2
	s_delay_alu instid0(VALU_DEP_1) | instskip(NEXT) | instid1(VALU_DEP_1)
	v_fma_f32 v10, -v1, v4, v9
	v_fmac_f32_e32 v4, v10, v2
	s_delay_alu instid0(VALU_DEP_1) | instskip(SKIP_1) | instid1(VALU_DEP_2)
	v_fma_f32 v1, -v1, v4, v9
	v_mov_b32_e32 v9, s34
	v_div_fmas_f32 v1, v1, v2, v4
	s_delay_alu instid0(VALU_DEP_1)
	v_div_fixup_f32 v2, v1, v27, v0
.LBB1_73:                               ;   in Loop: Header=BB1_19 Depth=1
	s_or_b32 exec_lo, exec_lo, s2
.LBB1_74:                               ;   in Loop: Header=BB1_19 Depth=1
	s_and_not1_saveexec_b32 s2, s8
	s_cbranch_execz .LBB1_76
; %bb.75:                               ;   in Loop: Header=BB1_19 Depth=1
	v_sub_f32_e32 v0, v3, v143
	s_delay_alu instid0(VALU_DEP_1) | instskip(SKIP_1) | instid1(VALU_DEP_2)
	v_div_scale_f32 v1, null, v27, v27, v0
	v_div_scale_f32 v9, vcc_lo, v0, v27, v0
	v_rcp_f32_e32 v2, v1
	s_waitcnt_depctr 0xfff
	v_fma_f32 v4, -v1, v2, 1.0
	s_delay_alu instid0(VALU_DEP_1) | instskip(NEXT) | instid1(VALU_DEP_1)
	v_fmac_f32_e32 v2, v4, v2
	v_mul_f32_e32 v4, v9, v2
	s_delay_alu instid0(VALU_DEP_1) | instskip(NEXT) | instid1(VALU_DEP_1)
	v_fma_f32 v10, -v1, v4, v9
	v_fmac_f32_e32 v4, v10, v2
	s_delay_alu instid0(VALU_DEP_1) | instskip(SKIP_1) | instid1(VALU_DEP_2)
	v_fma_f32 v1, -v1, v4, v9
	v_mov_b32_e32 v9, 0
	v_div_fmas_f32 v1, v1, v2, v4
	s_delay_alu instid0(VALU_DEP_1)
	v_div_fixup_f32 v2, v1, v27, v0
.LBB1_76:                               ;   in Loop: Header=BB1_19 Depth=1
	s_or_b32 exec_lo, exec_lo, s2
	global_load_b32 v4, v40, s[18:19]
	v_cmp_lt_i32_e32 vcc_lo, -1, v9
	v_cmp_le_f32_e64 s2, v2, v8
                                        ; implicit-def: $vgpr0
	s_delay_alu instid0(VALU_DEP_1)
	s_and_b32 s9, vcc_lo, s2
	s_mov_b32 s2, -1
	s_and_saveexec_b32 s8, s9
	s_cbranch_execz .LBB1_94
; %bb.77:                               ;   in Loop: Header=BB1_19 Depth=1
	v_fma_f32 v0, v28, v2, v34
	v_mov_b32_e32 v1, -1
	s_mov_b32 s9, exec_lo
	s_waitcnt vmcnt(0)
	s_delay_alu instid0(VALU_DEP_2)
	v_cmpx_ngt_f32_e32 v4, v0
	s_cbranch_execz .LBB1_83
; %bb.78:                               ;   in Loop: Header=BB1_19 Depth=1
	global_load_b32 v1, v40, s[58:59]
	s_waitcnt vmcnt(0)
	v_cmp_lt_f32_e32 vcc_lo, v1, v0
	v_cndmask_b32_e64 v1, 0, -1, vcc_lo
	s_or_b32 s2, vcc_lo, s79
	s_delay_alu instid0(VALU_DEP_1) | instid1(SALU_CYCLE_1)
	v_cndmask_b32_e64 v1, s82, v1, s2
	s_or_b32 s2, vcc_lo, s80
	s_delay_alu instid0(SALU_CYCLE_1) | instskip(NEXT) | instid1(SALU_CYCLE_1)
	s_xor_b32 s11, s2, -1
	s_and_saveexec_b32 s2, s11
	s_cbranch_execz .LBB1_82
; %bb.79:                               ;   in Loop: Header=BB1_19 Depth=1
	v_dual_mov_b32 v1, s13 :: v_dual_mov_b32 v10, 0
	s_mov_b32 s11, 0
	.p2align	6
.LBB1_80:                               ;   Parent Loop BB1_19 Depth=1
                                        ; =>  This Inner Loop Header: Depth=2
	s_delay_alu instid0(VALU_DEP_1) | instskip(NEXT) | instid1(VALU_DEP_1)
	v_add_nc_u32_e32 v11, v10, v1
	v_lshrrev_b32_e32 v12, 31, v11
	s_delay_alu instid0(VALU_DEP_1) | instskip(NEXT) | instid1(VALU_DEP_1)
	v_add_nc_u32_e32 v11, v11, v12
	v_ashrrev_i32_e32 v11, 1, v11
	s_delay_alu instid0(VALU_DEP_1) | instskip(NEXT) | instid1(VALU_DEP_1)
	v_ashrrev_i32_e32 v12, 31, v11
	v_lshlrev_b64 v[12:13], 2, v[11:12]
	s_delay_alu instid0(VALU_DEP_1) | instskip(NEXT) | instid1(VALU_DEP_2)
	v_add_co_u32 v12, vcc_lo, s18, v12
	v_add_co_ci_u32_e32 v13, vcc_lo, s19, v13, vcc_lo
	global_load_b32 v12, v[12:13], off
	s_waitcnt vmcnt(0)
	v_cmp_nge_f32_e32 vcc_lo, v12, v0
	v_dual_cndmask_b32 v10, v10, v11 :: v_dual_cndmask_b32 v1, v11, v1
	s_delay_alu instid0(VALU_DEP_1) | instskip(NEXT) | instid1(VALU_DEP_1)
	v_sub_nc_u32_e32 v11, v1, v10
	v_cmp_gt_i32_e32 vcc_lo, 2, v11
	s_or_b32 s11, vcc_lo, s11
	s_delay_alu instid0(SALU_CYCLE_1)
	s_and_not1_b32 exec_lo, exec_lo, s11
	s_cbranch_execnz .LBB1_80
; %bb.81:                               ;   in Loop: Header=BB1_19 Depth=1
	s_or_b32 exec_lo, exec_lo, s11
	v_add_nc_u32_e32 v1, -1, v1
.LBB1_82:                               ;   in Loop: Header=BB1_19 Depth=1
	s_or_b32 exec_lo, exec_lo, s2
.LBB1_83:                               ;   in Loop: Header=BB1_19 Depth=1
	s_delay_alu instid0(SALU_CYCLE_1)
	s_or_b32 exec_lo, exec_lo, s9
	s_mov_b32 s2, -1
	s_mov_b32 s9, exec_lo
                                        ; implicit-def: $vgpr0
	v_cmpx_lt_i32_e32 -1, v1
	s_cbranch_execz .LBB1_93
; %bb.84:                               ;   in Loop: Header=BB1_19 Depth=1
	global_load_b32 v10, v40, s[48:49]
	v_fma_f32 v0, v29, v2, v35
	s_waitcnt vmcnt(0)
	s_delay_alu instid0(VALU_DEP_1)
	v_cmp_ngt_f32_e32 vcc_lo, v10, v0
	v_mov_b32_e32 v10, -1
	s_and_saveexec_b32 s11, vcc_lo
	s_cbranch_execz .LBB1_90
; %bb.85:                               ;   in Loop: Header=BB1_19 Depth=1
	global_load_b32 v10, v40, s[62:63]
	s_waitcnt vmcnt(0)
	v_cmp_lt_f32_e32 vcc_lo, v10, v0
	v_cndmask_b32_e64 v10, 0, -1, vcc_lo
	s_or_b32 s2, vcc_lo, s15
	s_delay_alu instid0(VALU_DEP_1) | instid1(SALU_CYCLE_1)
	v_cndmask_b32_e64 v10, s85, v10, s2
	s_or_b32 s2, vcc_lo, s81
	s_delay_alu instid0(SALU_CYCLE_1) | instskip(NEXT) | instid1(SALU_CYCLE_1)
	s_xor_b32 s30, s2, -1
	s_and_saveexec_b32 s2, s30
	s_cbranch_execz .LBB1_89
; %bb.86:                               ;   in Loop: Header=BB1_19 Depth=1
	v_dual_mov_b32 v10, s14 :: v_dual_mov_b32 v11, 0
	s_mov_b32 s30, 0
	.p2align	6
.LBB1_87:                               ;   Parent Loop BB1_19 Depth=1
                                        ; =>  This Inner Loop Header: Depth=2
	s_delay_alu instid0(VALU_DEP_1) | instskip(NEXT) | instid1(VALU_DEP_1)
	v_add_nc_u32_e32 v12, v11, v10
	v_lshrrev_b32_e32 v13, 31, v12
	s_delay_alu instid0(VALU_DEP_1) | instskip(NEXT) | instid1(VALU_DEP_1)
	v_add_nc_u32_e32 v12, v12, v13
	v_ashrrev_i32_e32 v12, 1, v12
	s_delay_alu instid0(VALU_DEP_1) | instskip(NEXT) | instid1(VALU_DEP_1)
	v_ashrrev_i32_e32 v13, 31, v12
	v_lshlrev_b64 v[13:14], 2, v[12:13]
	s_delay_alu instid0(VALU_DEP_1) | instskip(NEXT) | instid1(VALU_DEP_2)
	v_add_co_u32 v13, vcc_lo, s48, v13
	v_add_co_ci_u32_e32 v14, vcc_lo, s49, v14, vcc_lo
	global_load_b32 v13, v[13:14], off
	s_waitcnt vmcnt(0)
	v_cmp_nge_f32_e32 vcc_lo, v13, v0
	v_dual_cndmask_b32 v11, v11, v12 :: v_dual_cndmask_b32 v10, v12, v10
	s_delay_alu instid0(VALU_DEP_1) | instskip(NEXT) | instid1(VALU_DEP_1)
	v_sub_nc_u32_e32 v12, v10, v11
	v_cmp_gt_i32_e32 vcc_lo, 2, v12
	s_or_b32 s30, vcc_lo, s30
	s_delay_alu instid0(SALU_CYCLE_1)
	s_and_not1_b32 exec_lo, exec_lo, s30
	s_cbranch_execnz .LBB1_87
; %bb.88:                               ;   in Loop: Header=BB1_19 Depth=1
	s_or_b32 exec_lo, exec_lo, s30
	v_add_nc_u32_e32 v10, -1, v10
.LBB1_89:                               ;   in Loop: Header=BB1_19 Depth=1
	s_or_b32 exec_lo, exec_lo, s2
.LBB1_90:                               ;   in Loop: Header=BB1_19 Depth=1
	s_delay_alu instid0(SALU_CYCLE_1)
	s_or_b32 exec_lo, exec_lo, s11
	s_mov_b32 s11, -1
	s_mov_b32 s2, exec_lo
                                        ; implicit-def: $vgpr0
	v_cmpx_lt_i32_e32 -1, v10
; %bb.91:                               ;   in Loop: Header=BB1_19 Depth=1
	v_mad_u64_u32 v[11:12], null, v10, s13, v[1:2]
	v_mov_b32_e32 v8, v2
	s_xor_b32 s11, exec_lo, -1
	s_delay_alu instid0(VALU_DEP_2) | instskip(NEXT) | instid1(VALU_DEP_1)
	v_mul_lo_u32 v0, s12, v11
	v_add3_u32 v0, v9, v0, 1
; %bb.92:                               ;   in Loop: Header=BB1_19 Depth=1
	s_or_b32 exec_lo, exec_lo, s2
	s_delay_alu instid0(SALU_CYCLE_1)
	s_or_not1_b32 s2, s11, exec_lo
.LBB1_93:                               ;   in Loop: Header=BB1_19 Depth=1
	s_or_b32 exec_lo, exec_lo, s9
	s_delay_alu instid0(SALU_CYCLE_1)
	s_or_not1_b32 s2, s2, exec_lo
.LBB1_94:                               ;   in Loop: Header=BB1_19 Depth=1
	s_or_b32 exec_lo, exec_lo, s8
	s_and_saveexec_b32 s8, s2
	s_cbranch_execz .LBB1_146
; %bb.95:                               ;   in Loop: Header=BB1_19 Depth=1
	s_waitcnt vmcnt(0)
	v_cmp_nle_f32_e32 vcc_lo, v34, v4
	v_cmp_nlt_f32_e64 s2, 0, v28
                                        ; implicit-def: $vgpr1
	s_delay_alu instid0(VALU_DEP_1) | instskip(NEXT) | instid1(SALU_CYCLE_1)
	s_or_b32 s2, vcc_lo, s2
	s_and_saveexec_b32 s9, s2
	s_delay_alu instid0(SALU_CYCLE_1)
	s_xor_b32 s9, exec_lo, s9
	s_cbranch_execz .LBB1_99
; %bb.96:                               ;   in Loop: Header=BB1_19 Depth=1
	global_load_b32 v9, v40, s[58:59]
	v_cmp_gt_f32_e64 s2, 0, v28
	v_mov_b32_e32 v1, -1
	s_waitcnt vmcnt(0)
	v_cmp_ge_f32_e32 vcc_lo, v34, v9
	s_delay_alu instid0(VALU_DEP_3) | instskip(NEXT) | instid1(SALU_CYCLE_1)
	s_and_b32 s11, vcc_lo, s2
	s_and_saveexec_b32 s2, s11
	s_cbranch_execz .LBB1_98
; %bb.97:                               ;   in Loop: Header=BB1_19 Depth=1
	v_sub_f32_e32 v1, v9, v34
	s_delay_alu instid0(VALU_DEP_1) | instskip(SKIP_1) | instid1(VALU_DEP_2)
	v_div_scale_f32 v2, null, v28, v28, v1
	v_div_scale_f32 v11, vcc_lo, v1, v28, v1
	v_rcp_f32_e32 v9, v2
	s_waitcnt_depctr 0xfff
	v_fma_f32 v10, -v2, v9, 1.0
	s_delay_alu instid0(VALU_DEP_1) | instskip(NEXT) | instid1(VALU_DEP_1)
	v_fmac_f32_e32 v9, v10, v9
	v_mul_f32_e32 v10, v11, v9
	s_delay_alu instid0(VALU_DEP_1) | instskip(NEXT) | instid1(VALU_DEP_1)
	v_fma_f32 v12, -v2, v10, v11
	v_fmac_f32_e32 v10, v12, v9
	s_delay_alu instid0(VALU_DEP_1) | instskip(NEXT) | instid1(VALU_DEP_1)
	v_fma_f32 v2, -v2, v10, v11
	v_div_fmas_f32 v2, v2, v9, v10
	s_delay_alu instid0(VALU_DEP_1)
	v_div_fixup_f32 v2, v2, v28, v1
	v_mov_b32_e32 v1, s82
.LBB1_98:                               ;   in Loop: Header=BB1_19 Depth=1
	s_or_b32 exec_lo, exec_lo, s2
.LBB1_99:                               ;   in Loop: Header=BB1_19 Depth=1
	s_and_not1_saveexec_b32 s2, s9
	s_cbranch_execz .LBB1_101
; %bb.100:                              ;   in Loop: Header=BB1_19 Depth=1
	v_sub_f32_e32 v1, v4, v34
	s_delay_alu instid0(VALU_DEP_1) | instskip(SKIP_1) | instid1(VALU_DEP_2)
	v_div_scale_f32 v2, null, v28, v28, v1
	v_div_scale_f32 v11, vcc_lo, v1, v28, v1
	v_rcp_f32_e32 v9, v2
	s_waitcnt_depctr 0xfff
	v_fma_f32 v10, -v2, v9, 1.0
	s_delay_alu instid0(VALU_DEP_1) | instskip(NEXT) | instid1(VALU_DEP_1)
	v_fmac_f32_e32 v9, v10, v9
	v_mul_f32_e32 v10, v11, v9
	s_delay_alu instid0(VALU_DEP_1) | instskip(NEXT) | instid1(VALU_DEP_1)
	v_fma_f32 v12, -v2, v10, v11
	v_fmac_f32_e32 v10, v12, v9
	s_delay_alu instid0(VALU_DEP_1) | instskip(NEXT) | instid1(VALU_DEP_1)
	v_fma_f32 v2, -v2, v10, v11
	v_div_fmas_f32 v2, v2, v9, v10
	s_delay_alu instid0(VALU_DEP_1)
	v_div_fixup_f32 v2, v2, v28, v1
	v_mov_b32_e32 v1, 0
.LBB1_101:                              ;   in Loop: Header=BB1_19 Depth=1
	s_or_b32 exec_lo, exec_lo, s2
	s_delay_alu instid0(VALU_DEP_1) | instskip(NEXT) | instid1(VALU_DEP_3)
	v_cmp_lt_i32_e32 vcc_lo, -1, v1
	v_cmp_le_f32_e64 s2, v2, v8
	s_delay_alu instid0(VALU_DEP_1)
	s_and_b32 s11, vcc_lo, s2
	s_mov_b32 s2, -1
	s_and_saveexec_b32 s9, s11
	s_cbranch_execz .LBB1_119
; %bb.102:                              ;   in Loop: Header=BB1_19 Depth=1
	v_fma_f32 v10, v27, v2, v143
	v_mov_b32_e32 v9, -1
	s_mov_b32 s11, exec_lo
	s_delay_alu instid0(VALU_DEP_2)
	v_cmpx_ngt_f32_e32 v3, v10
	s_cbranch_execz .LBB1_108
; %bb.103:                              ;   in Loop: Header=BB1_19 Depth=1
	global_load_b32 v9, v40, s[56:57]
	s_waitcnt vmcnt(0)
	v_cmp_lt_f32_e32 vcc_lo, v9, v10
	v_cndmask_b32_e64 v9, 0, -1, vcc_lo
	s_or_b32 s2, vcc_lo, s83
	s_delay_alu instid0(VALU_DEP_1) | instid1(SALU_CYCLE_1)
	v_cndmask_b32_e64 v9, s34, v9, s2
	s_or_b32 s2, vcc_lo, s84
	s_delay_alu instid0(SALU_CYCLE_1) | instskip(NEXT) | instid1(SALU_CYCLE_1)
	s_xor_b32 s30, s2, -1
	s_and_saveexec_b32 s2, s30
	s_cbranch_execz .LBB1_107
; %bb.104:                              ;   in Loop: Header=BB1_19 Depth=1
	v_mov_b32_e32 v9, s12
	v_mov_b32_e32 v11, 0
	s_mov_b32 s30, 0
	.p2align	6
.LBB1_105:                              ;   Parent Loop BB1_19 Depth=1
                                        ; =>  This Inner Loop Header: Depth=2
	s_delay_alu instid0(VALU_DEP_1) | instskip(NEXT) | instid1(VALU_DEP_1)
	v_add_nc_u32_e32 v12, v11, v9
	v_lshrrev_b32_e32 v13, 31, v12
	s_delay_alu instid0(VALU_DEP_1) | instskip(NEXT) | instid1(VALU_DEP_1)
	v_add_nc_u32_e32 v12, v12, v13
	v_ashrrev_i32_e32 v12, 1, v12
	s_delay_alu instid0(VALU_DEP_1) | instskip(NEXT) | instid1(VALU_DEP_1)
	v_ashrrev_i32_e32 v13, 31, v12
	v_lshlrev_b64 v[13:14], 2, v[12:13]
	s_delay_alu instid0(VALU_DEP_1) | instskip(NEXT) | instid1(VALU_DEP_2)
	v_add_co_u32 v13, vcc_lo, s16, v13
	v_add_co_ci_u32_e32 v14, vcc_lo, s17, v14, vcc_lo
	global_load_b32 v13, v[13:14], off
	s_waitcnt vmcnt(0)
	v_cmp_nge_f32_e32 vcc_lo, v13, v10
	v_cndmask_b32_e32 v11, v11, v12, vcc_lo
	v_cndmask_b32_e32 v9, v12, v9, vcc_lo
	s_delay_alu instid0(VALU_DEP_1) | instskip(NEXT) | instid1(VALU_DEP_1)
	v_sub_nc_u32_e32 v12, v9, v11
	v_cmp_gt_i32_e32 vcc_lo, 2, v12
	s_or_b32 s30, vcc_lo, s30
	s_delay_alu instid0(SALU_CYCLE_1)
	s_and_not1_b32 exec_lo, exec_lo, s30
	s_cbranch_execnz .LBB1_105
; %bb.106:                              ;   in Loop: Header=BB1_19 Depth=1
	s_or_b32 exec_lo, exec_lo, s30
	v_add_nc_u32_e32 v9, -1, v9
.LBB1_107:                              ;   in Loop: Header=BB1_19 Depth=1
	s_or_b32 exec_lo, exec_lo, s2
.LBB1_108:                              ;   in Loop: Header=BB1_19 Depth=1
	s_delay_alu instid0(SALU_CYCLE_1)
	s_or_b32 exec_lo, exec_lo, s11
	s_mov_b32 s2, -1
	s_mov_b32 s11, exec_lo
	v_cmpx_lt_i32_e32 -1, v9
	s_cbranch_execz .LBB1_118
; %bb.109:                              ;   in Loop: Header=BB1_19 Depth=1
	global_load_b32 v11, v40, s[48:49]
	v_fma_f32 v10, v29, v2, v35
	s_waitcnt vmcnt(0)
	s_delay_alu instid0(VALU_DEP_1)
	v_cmp_ngt_f32_e32 vcc_lo, v11, v10
	v_mov_b32_e32 v11, -1
	s_and_saveexec_b32 s30, vcc_lo
	s_cbranch_execz .LBB1_115
; %bb.110:                              ;   in Loop: Header=BB1_19 Depth=1
	global_load_b32 v11, v40, s[62:63]
	s_waitcnt vmcnt(0)
	v_cmp_lt_f32_e32 vcc_lo, v11, v10
	v_cndmask_b32_e64 v11, 0, -1, vcc_lo
	s_or_b32 s2, vcc_lo, s15
	s_delay_alu instid0(VALU_DEP_1) | instid1(SALU_CYCLE_1)
	v_cndmask_b32_e64 v11, s85, v11, s2
	s_or_b32 s2, vcc_lo, s81
	s_delay_alu instid0(SALU_CYCLE_1) | instskip(NEXT) | instid1(SALU_CYCLE_1)
	s_xor_b32 s31, s2, -1
	s_and_saveexec_b32 s2, s31
	s_cbranch_execz .LBB1_114
; %bb.111:                              ;   in Loop: Header=BB1_19 Depth=1
	v_dual_mov_b32 v11, s14 :: v_dual_mov_b32 v12, 0
	s_mov_b32 s31, 0
	.p2align	6
.LBB1_112:                              ;   Parent Loop BB1_19 Depth=1
                                        ; =>  This Inner Loop Header: Depth=2
	s_delay_alu instid0(VALU_DEP_1) | instskip(NEXT) | instid1(VALU_DEP_1)
	v_add_nc_u32_e32 v13, v12, v11
	v_lshrrev_b32_e32 v14, 31, v13
	s_delay_alu instid0(VALU_DEP_1) | instskip(NEXT) | instid1(VALU_DEP_1)
	v_add_nc_u32_e32 v13, v13, v14
	v_ashrrev_i32_e32 v13, 1, v13
	s_delay_alu instid0(VALU_DEP_1) | instskip(NEXT) | instid1(VALU_DEP_1)
	v_ashrrev_i32_e32 v14, 31, v13
	v_lshlrev_b64 v[14:15], 2, v[13:14]
	s_delay_alu instid0(VALU_DEP_1) | instskip(NEXT) | instid1(VALU_DEP_2)
	v_add_co_u32 v14, vcc_lo, s48, v14
	v_add_co_ci_u32_e32 v15, vcc_lo, s49, v15, vcc_lo
	global_load_b32 v14, v[14:15], off
	s_waitcnt vmcnt(0)
	v_cmp_nge_f32_e32 vcc_lo, v14, v10
	v_dual_cndmask_b32 v12, v12, v13 :: v_dual_cndmask_b32 v11, v13, v11
	s_delay_alu instid0(VALU_DEP_1) | instskip(NEXT) | instid1(VALU_DEP_1)
	v_sub_nc_u32_e32 v13, v11, v12
	v_cmp_gt_i32_e32 vcc_lo, 2, v13
	s_or_b32 s31, vcc_lo, s31
	s_delay_alu instid0(SALU_CYCLE_1)
	s_and_not1_b32 exec_lo, exec_lo, s31
	s_cbranch_execnz .LBB1_112
; %bb.113:                              ;   in Loop: Header=BB1_19 Depth=1
	s_or_b32 exec_lo, exec_lo, s31
	v_add_nc_u32_e32 v11, -1, v11
.LBB1_114:                              ;   in Loop: Header=BB1_19 Depth=1
	s_or_b32 exec_lo, exec_lo, s2
.LBB1_115:                              ;   in Loop: Header=BB1_19 Depth=1
	s_delay_alu instid0(SALU_CYCLE_1)
	s_or_b32 exec_lo, exec_lo, s30
	s_mov_b32 s30, -1
	s_mov_b32 s2, exec_lo
	v_cmpx_lt_i32_e32 -1, v11
; %bb.116:                              ;   in Loop: Header=BB1_19 Depth=1
	v_mad_u64_u32 v[12:13], null, s13, v11, v[1:2]
	v_mov_b32_e32 v8, v2
	s_xor_b32 s30, exec_lo, -1
	s_delay_alu instid0(VALU_DEP_2) | instskip(NEXT) | instid1(VALU_DEP_1)
	v_mul_lo_u32 v0, v12, s12
	v_add3_u32 v0, v9, v0, 1
; %bb.117:                              ;   in Loop: Header=BB1_19 Depth=1
	s_or_b32 exec_lo, exec_lo, s2
	s_delay_alu instid0(SALU_CYCLE_1)
	s_or_not1_b32 s2, s30, exec_lo
.LBB1_118:                              ;   in Loop: Header=BB1_19 Depth=1
	s_or_b32 exec_lo, exec_lo, s11
	s_delay_alu instid0(SALU_CYCLE_1)
	s_or_not1_b32 s2, s2, exec_lo
.LBB1_119:                              ;   in Loop: Header=BB1_19 Depth=1
	s_or_b32 exec_lo, exec_lo, s9
	s_and_saveexec_b32 s9, s2
	s_cbranch_execz .LBB1_145
; %bb.120:                              ;   in Loop: Header=BB1_19 Depth=1
	global_load_b32 v0, v40, s[48:49]
	v_cmp_nlt_f32_e64 s2, 0, v29
                                        ; implicit-def: $vgpr9
	s_waitcnt vmcnt(0)
	v_cmp_nle_f32_e32 vcc_lo, v35, v0
	s_delay_alu instid0(VALU_DEP_2) | instskip(NEXT) | instid1(SALU_CYCLE_1)
	s_or_b32 s2, vcc_lo, s2
	s_and_saveexec_b32 s11, s2
	s_delay_alu instid0(SALU_CYCLE_1)
	s_xor_b32 s11, exec_lo, s11
	s_cbranch_execz .LBB1_124
; %bb.121:                              ;   in Loop: Header=BB1_19 Depth=1
	global_load_b32 v0, v40, s[62:63]
	v_cmp_gt_f32_e64 s2, 0, v29
	v_mov_b32_e32 v9, -1
	s_waitcnt vmcnt(0)
	v_cmp_ge_f32_e32 vcc_lo, v35, v0
	s_delay_alu instid0(VALU_DEP_3) | instskip(NEXT) | instid1(SALU_CYCLE_1)
	s_and_b32 s30, vcc_lo, s2
	s_and_saveexec_b32 s2, s30
	s_cbranch_execz .LBB1_123
; %bb.122:                              ;   in Loop: Header=BB1_19 Depth=1
	v_sub_f32_e32 v0, v0, v35
	s_delay_alu instid0(VALU_DEP_1) | instskip(SKIP_1) | instid1(VALU_DEP_2)
	v_div_scale_f32 v1, null, v29, v29, v0
	v_div_scale_f32 v10, vcc_lo, v0, v29, v0
	v_rcp_f32_e32 v2, v1
	s_waitcnt_depctr 0xfff
	v_fma_f32 v9, -v1, v2, 1.0
	s_delay_alu instid0(VALU_DEP_1) | instskip(NEXT) | instid1(VALU_DEP_1)
	v_fmac_f32_e32 v2, v9, v2
	v_mul_f32_e32 v9, v10, v2
	s_delay_alu instid0(VALU_DEP_1) | instskip(NEXT) | instid1(VALU_DEP_1)
	v_fma_f32 v11, -v1, v9, v10
	v_fmac_f32_e32 v9, v11, v2
	s_delay_alu instid0(VALU_DEP_1) | instskip(NEXT) | instid1(VALU_DEP_1)
	v_fma_f32 v1, -v1, v9, v10
	v_div_fmas_f32 v1, v1, v2, v9
	v_mov_b32_e32 v9, s85
	s_delay_alu instid0(VALU_DEP_2)
	v_div_fixup_f32 v2, v1, v29, v0
.LBB1_123:                              ;   in Loop: Header=BB1_19 Depth=1
	s_or_b32 exec_lo, exec_lo, s2
                                        ; implicit-def: $vgpr0
.LBB1_124:                              ;   in Loop: Header=BB1_19 Depth=1
	s_and_not1_saveexec_b32 s2, s11
	s_cbranch_execz .LBB1_126
; %bb.125:                              ;   in Loop: Header=BB1_19 Depth=1
	v_sub_f32_e32 v0, v0, v35
	s_delay_alu instid0(VALU_DEP_1) | instskip(SKIP_1) | instid1(VALU_DEP_2)
	v_div_scale_f32 v1, null, v29, v29, v0
	v_div_scale_f32 v10, vcc_lo, v0, v29, v0
	v_rcp_f32_e32 v2, v1
	s_waitcnt_depctr 0xfff
	v_fma_f32 v9, -v1, v2, 1.0
	s_delay_alu instid0(VALU_DEP_1) | instskip(NEXT) | instid1(VALU_DEP_1)
	v_fmac_f32_e32 v2, v9, v2
	v_mul_f32_e32 v9, v10, v2
	s_delay_alu instid0(VALU_DEP_1) | instskip(NEXT) | instid1(VALU_DEP_1)
	v_fma_f32 v11, -v1, v9, v10
	v_fmac_f32_e32 v9, v11, v2
	s_delay_alu instid0(VALU_DEP_1) | instskip(NEXT) | instid1(VALU_DEP_1)
	v_fma_f32 v1, -v1, v9, v10
	v_div_fmas_f32 v1, v1, v2, v9
	v_mov_b32_e32 v9, 0
	s_delay_alu instid0(VALU_DEP_2)
	v_div_fixup_f32 v2, v1, v29, v0
.LBB1_126:                              ;   in Loop: Header=BB1_19 Depth=1
	s_or_b32 exec_lo, exec_lo, s2
	s_delay_alu instid0(VALU_DEP_2) | instskip(NEXT) | instid1(VALU_DEP_2)
	v_cmp_lt_i32_e32 vcc_lo, -1, v9
	v_cmp_le_f32_e64 s2, v2, v8
	v_mov_b32_e32 v0, 0
	s_delay_alu instid0(VALU_DEP_2) | instskip(NEXT) | instid1(SALU_CYCLE_1)
	s_and_b32 s2, vcc_lo, s2
	s_and_saveexec_b32 s11, s2
	s_cbranch_execz .LBB1_144
; %bb.127:                              ;   in Loop: Header=BB1_19 Depth=1
	v_fma_f32 v0, v27, v2, v143
	s_delay_alu instid0(VALU_DEP_1)
	v_cmp_ngt_f32_e32 vcc_lo, v3, v0
	v_mov_b32_e32 v3, -1
	s_and_saveexec_b32 s30, vcc_lo
	s_cbranch_execz .LBB1_133
; %bb.128:                              ;   in Loop: Header=BB1_19 Depth=1
	global_load_b32 v1, v40, s[56:57]
	s_waitcnt vmcnt(0)
	v_cmp_lt_f32_e32 vcc_lo, v1, v0
	v_cndmask_b32_e64 v1, 0, -1, vcc_lo
	s_or_b32 s2, vcc_lo, s83
	s_delay_alu instid0(VALU_DEP_1) | instid1(SALU_CYCLE_1)
	v_cndmask_b32_e64 v3, s34, v1, s2
	s_or_b32 s2, vcc_lo, s84
	s_delay_alu instid0(SALU_CYCLE_1) | instskip(NEXT) | instid1(SALU_CYCLE_1)
	s_xor_b32 s31, s2, -1
	s_and_saveexec_b32 s2, s31
	s_cbranch_execz .LBB1_132
; %bb.129:                              ;   in Loop: Header=BB1_19 Depth=1
	v_mov_b32_e32 v1, s12
	v_mov_b32_e32 v3, 0
	s_mov_b32 s31, 0
	.p2align	6
.LBB1_130:                              ;   Parent Loop BB1_19 Depth=1
                                        ; =>  This Inner Loop Header: Depth=2
	s_delay_alu instid0(VALU_DEP_1) | instskip(NEXT) | instid1(VALU_DEP_1)
	v_add_nc_u32_e32 v10, v3, v1
	v_lshrrev_b32_e32 v11, 31, v10
	s_delay_alu instid0(VALU_DEP_1) | instskip(NEXT) | instid1(VALU_DEP_1)
	v_add_nc_u32_e32 v10, v10, v11
	v_ashrrev_i32_e32 v10, 1, v10
	s_delay_alu instid0(VALU_DEP_1) | instskip(NEXT) | instid1(VALU_DEP_1)
	v_ashrrev_i32_e32 v11, 31, v10
	v_lshlrev_b64 v[11:12], 2, v[10:11]
	s_delay_alu instid0(VALU_DEP_1) | instskip(NEXT) | instid1(VALU_DEP_2)
	v_add_co_u32 v11, vcc_lo, s16, v11
	v_add_co_ci_u32_e32 v12, vcc_lo, s17, v12, vcc_lo
	global_load_b32 v11, v[11:12], off
	s_waitcnt vmcnt(0)
	v_cmp_nge_f32_e32 vcc_lo, v11, v0
	v_cndmask_b32_e32 v3, v3, v10, vcc_lo
	v_cndmask_b32_e32 v1, v10, v1, vcc_lo
	s_delay_alu instid0(VALU_DEP_1) | instskip(NEXT) | instid1(VALU_DEP_1)
	v_sub_nc_u32_e32 v10, v1, v3
	v_cmp_gt_i32_e32 vcc_lo, 2, v10
	s_or_b32 s31, vcc_lo, s31
	s_delay_alu instid0(SALU_CYCLE_1)
	s_and_not1_b32 exec_lo, exec_lo, s31
	s_cbranch_execnz .LBB1_130
; %bb.131:                              ;   in Loop: Header=BB1_19 Depth=1
	s_or_b32 exec_lo, exec_lo, s31
	v_add_nc_u32_e32 v3, -1, v1
.LBB1_132:                              ;   in Loop: Header=BB1_19 Depth=1
	s_or_b32 exec_lo, exec_lo, s2
.LBB1_133:                              ;   in Loop: Header=BB1_19 Depth=1
	s_delay_alu instid0(SALU_CYCLE_1)
	s_or_b32 exec_lo, exec_lo, s30
	v_mov_b32_e32 v0, 0
	s_mov_b32 s30, exec_lo
	v_cmpx_lt_i32_e32 -1, v3
	s_cbranch_execz .LBB1_143
; %bb.134:                              ;   in Loop: Header=BB1_19 Depth=1
	v_fma_f32 v0, v28, v2, v34
	v_mov_b32_e32 v1, -1
	s_mov_b32 s31, exec_lo
	s_delay_alu instid0(VALU_DEP_2)
	v_cmpx_ngt_f32_e32 v4, v0
	s_cbranch_execz .LBB1_140
; %bb.135:                              ;   in Loop: Header=BB1_19 Depth=1
	global_load_b32 v1, v40, s[58:59]
	s_waitcnt vmcnt(0)
	v_cmp_lt_f32_e32 vcc_lo, v1, v0
	v_cndmask_b32_e64 v1, 0, -1, vcc_lo
	s_or_b32 s2, vcc_lo, s79
	s_delay_alu instid0(VALU_DEP_1) | instid1(SALU_CYCLE_1)
	v_cndmask_b32_e64 v1, s82, v1, s2
	s_or_b32 s2, vcc_lo, s80
	s_delay_alu instid0(SALU_CYCLE_1) | instskip(NEXT) | instid1(SALU_CYCLE_1)
	s_xor_b32 s91, s2, -1
	s_and_saveexec_b32 s2, s91
	s_cbranch_execz .LBB1_139
; %bb.136:                              ;   in Loop: Header=BB1_19 Depth=1
	v_dual_mov_b32 v1, s13 :: v_dual_mov_b32 v4, 0
	s_mov_b32 s91, 0
	.p2align	6
.LBB1_137:                              ;   Parent Loop BB1_19 Depth=1
                                        ; =>  This Inner Loop Header: Depth=2
	s_delay_alu instid0(VALU_DEP_1) | instskip(NEXT) | instid1(VALU_DEP_1)
	v_add_nc_u32_e32 v10, v4, v1
	v_lshrrev_b32_e32 v11, 31, v10
	s_delay_alu instid0(VALU_DEP_1) | instskip(NEXT) | instid1(VALU_DEP_1)
	v_add_nc_u32_e32 v10, v10, v11
	v_ashrrev_i32_e32 v10, 1, v10
	s_delay_alu instid0(VALU_DEP_1) | instskip(NEXT) | instid1(VALU_DEP_1)
	v_ashrrev_i32_e32 v11, 31, v10
	v_lshlrev_b64 v[11:12], 2, v[10:11]
	s_delay_alu instid0(VALU_DEP_1) | instskip(NEXT) | instid1(VALU_DEP_2)
	v_add_co_u32 v11, vcc_lo, s18, v11
	v_add_co_ci_u32_e32 v12, vcc_lo, s19, v12, vcc_lo
	global_load_b32 v11, v[11:12], off
	s_waitcnt vmcnt(0)
	v_cmp_nge_f32_e32 vcc_lo, v11, v0
	v_dual_cndmask_b32 v4, v4, v10 :: v_dual_cndmask_b32 v1, v10, v1
	s_delay_alu instid0(VALU_DEP_1) | instskip(NEXT) | instid1(VALU_DEP_1)
	v_sub_nc_u32_e32 v10, v1, v4
	v_cmp_gt_i32_e32 vcc_lo, 2, v10
	s_or_b32 s91, vcc_lo, s91
	s_delay_alu instid0(SALU_CYCLE_1)
	s_and_not1_b32 exec_lo, exec_lo, s91
	s_cbranch_execnz .LBB1_137
; %bb.138:                              ;   in Loop: Header=BB1_19 Depth=1
	s_or_b32 exec_lo, exec_lo, s91
	v_add_nc_u32_e32 v1, -1, v1
.LBB1_139:                              ;   in Loop: Header=BB1_19 Depth=1
	s_or_b32 exec_lo, exec_lo, s2
.LBB1_140:                              ;   in Loop: Header=BB1_19 Depth=1
	s_delay_alu instid0(SALU_CYCLE_1)
	s_or_b32 exec_lo, exec_lo, s31
	v_mov_b32_e32 v0, 0
	s_mov_b32 s2, exec_lo
	v_cmpx_lt_i32_e32 -1, v1
; %bb.141:                              ;   in Loop: Header=BB1_19 Depth=1
	v_mad_u64_u32 v[10:11], null, s13, v9, v[1:2]
	v_mov_b32_e32 v8, v2
	s_delay_alu instid0(VALU_DEP_2) | instskip(NEXT) | instid1(VALU_DEP_1)
	v_mul_lo_u32 v0, v10, s12
	v_add3_u32 v0, v3, v0, 1
; %bb.142:                              ;   in Loop: Header=BB1_19 Depth=1
	s_or_b32 exec_lo, exec_lo, s2
.LBB1_143:                              ;   in Loop: Header=BB1_19 Depth=1
	s_delay_alu instid0(SALU_CYCLE_1)
	s_or_b32 exec_lo, exec_lo, s30
.LBB1_144:                              ;   in Loop: Header=BB1_19 Depth=1
	s_delay_alu instid0(SALU_CYCLE_1)
	s_or_b32 exec_lo, exec_lo, s11
.LBB1_145:                              ;   in Loop: Header=BB1_19 Depth=1
	s_delay_alu instid0(SALU_CYCLE_1)
	s_or_b32 exec_lo, exec_lo, s9
.LBB1_146:                              ;   in Loop: Header=BB1_19 Depth=1
	s_delay_alu instid0(SALU_CYCLE_1)
	s_or_b32 exec_lo, exec_lo, s8
.LBB1_147:                              ;   in Loop: Header=BB1_19 Depth=1
	s_delay_alu instid0(SALU_CYCLE_1) | instskip(SKIP_3) | instid1(VALU_DEP_3)
	s_or_b32 exec_lo, exec_lo, s4
	v_cmp_eq_u32_e64 s2, 0, v0
	v_dual_mov_b32 v154, -1 :: v_dual_mov_b32 v1, 0
	v_mov_b32_e32 v138, 1
	s_and_b32 s4, s0, s2
	s_delay_alu instid0(SALU_CYCLE_1) | instskip(NEXT) | instid1(SALU_CYCLE_1)
	s_xor_b32 s8, s4, -1
	s_and_saveexec_b32 s4, s8
	s_cbranch_execz .LBB1_155
; %bb.148:                              ;   in Loop: Header=BB1_19 Depth=1
	s_and_saveexec_b32 s8, s1
	s_cbranch_execz .LBB1_150
; %bb.149:                              ;   in Loop: Header=BB1_19 Depth=1
	v_div_scale_f32 v1, null, v7, v7, v8
	s_delay_alu instid0(VALU_DEP_1) | instskip(SKIP_2) | instid1(VALU_DEP_1)
	v_rcp_f32_e32 v2, v1
	s_waitcnt_depctr 0xfff
	v_fma_f32 v3, -v1, v2, 1.0
	v_fmac_f32_e32 v2, v3, v2
	v_div_scale_f32 v3, vcc_lo, v8, v7, v8
	s_waitcnt vmcnt(0)
	s_delay_alu instid0(VALU_DEP_1) | instskip(NEXT) | instid1(VALU_DEP_1)
	v_mul_f32_e32 v4, v3, v2
	v_fma_f32 v5, -v1, v4, v3
	s_delay_alu instid0(VALU_DEP_1) | instskip(NEXT) | instid1(VALU_DEP_1)
	v_fmac_f32_e32 v4, v5, v2
	v_fma_f32 v1, -v1, v4, v3
	s_delay_alu instid0(VALU_DEP_1) | instskip(NEXT) | instid1(VALU_DEP_1)
	v_div_fmas_f32 v1, v1, v2, v4
	v_div_fixup_f32 v1, v1, v7, v8
	s_delay_alu instid0(VALU_DEP_1) | instskip(NEXT) | instid1(VALU_DEP_1)
	v_sub_f32_e64 v1, -v6, v1
	v_max_f32_e32 v5, 0, v1
.LBB1_150:                              ;   in Loop: Header=BB1_19 Depth=1
	s_or_b32 exec_lo, exec_lo, s8
	v_mov_b32_e32 v154, v36
	s_mov_b32 s1, exec_lo
	v_cmpx_ne_u32_e64 v0, v39
	s_cbranch_execz .LBB1_152
; %bb.151:                              ;   in Loop: Header=BB1_19 Depth=1
	v_mov_b32_e32 v1, v40
	v_mov_b32_e32 v39, v0
	s_delay_alu instid0(VALU_DEP_2) | instskip(NEXT) | instid1(VALU_DEP_1)
	v_lshlrev_b64 v[1:2], 4, v[0:1]
	v_add_co_u32 v1, vcc_lo, s50, v1
	s_delay_alu instid0(VALU_DEP_2)
	v_add_co_ci_u32_e32 v2, vcc_lo, s51, v2, vcc_lo
	s_clause 0x1
	global_load_b32 v154, v[1:2], off
	global_load_b32 v38, v[1:2], off offset:8
	s_waitcnt vmcnt(1)
	v_lshrrev_b32_e32 v153, 16, v154
.LBB1_152:                              ;   in Loop: Header=BB1_19 Depth=1
	s_or_b32 exec_lo, exec_lo, s1
	v_mov_b32_e32 v138, 0
	s_mov_b32 s1, exec_lo
	s_waitcnt vmcnt(0)
	v_cmpx_nle_f32_e32 v24, v38
; %bb.153:                              ;   in Loop: Header=BB1_19 Depth=1
	s_xor_b32 s0, s0, -1
	s_delay_alu instid0(SALU_CYCLE_1) | instskip(NEXT) | instid1(SALU_CYCLE_1)
	s_and_b32 s0, s2, s0
	v_cndmask_b32_e64 v138, 2, 1, s0
; %bb.154:                              ;   in Loop: Header=BB1_19 Depth=1
	s_or_b32 exec_lo, exec_lo, s1
	v_fmac_f32_e32 v143, v27, v8
	v_dual_fmac_f32 v34, v28, v8 :: v_dual_mov_b32 v1, v39
	v_fmac_f32_e32 v35, v29, v8
.LBB1_155:                              ;   in Loop: Header=BB1_19 Depth=1
	s_or_b32 exec_lo, exec_lo, s4
	s_delay_alu instid0(VALU_DEP_2)
	v_mov_b32_e32 v39, v1
.LBB1_156:                              ;   in Loop: Header=BB1_19 Depth=1
	s_or_b32 exec_lo, exec_lo, s3
	v_and_b32_e32 v0, 0xff, v138
	s_mov_b32 s11, 0
	s_delay_alu instid0(VALU_DEP_1) | instskip(SKIP_1) | instid1(SALU_CYCLE_1)
	v_cmp_eq_u16_e32 vcc_lo, 2, v0
	s_and_b32 s0, s10, vcc_lo
	s_and_saveexec_b32 s2, s0
; %bb.157:                              ;   in Loop: Header=BB1_19 Depth=1
	v_cmp_eq_u16_e64 vcc_lo, v154, v36
	v_cmp_ne_u16_e64 s0, -1, v154
	v_cmp_nle_f32_e64 s1, 0x3727c5ac, v5
	v_mov_b32_e32 v138, 2
	s_delay_alu instid0(VALU_DEP_3)
	s_and_b32 s0, vcc_lo, s0
	s_delay_alu instid0(VALU_DEP_2) | instid1(SALU_CYCLE_1)
	s_and_b32 s0, s1, s0
	s_delay_alu instid0(SALU_CYCLE_1)
	s_and_b32 s11, s0, exec_lo
; %bb.158:                              ;   in Loop: Header=BB1_19 Depth=1
	s_or_b32 exec_lo, exec_lo, s2
	flat_load_u8 v0, v[49:50] glc dlc
	s_waitcnt vmcnt(0) lgkmcnt(0)
	v_cmp_lt_u32_e32 vcc_lo, 1, v0
	v_add_nc_u32_e32 v0, 1, v0
	s_and_saveexec_b32 s91, vcc_lo
	s_cbranch_execz .LBB1_160
; %bb.159:                              ;   in Loop: Header=BB1_19 Depth=1
	s_add_u32 s8, s6, 8
	s_addc_u32 s9, s7, 0
	s_getpc_b64 s[0:1]
	s_add_u32 s0, s0, _Z17MT_generate_arrayv@rel32@lo+4
	s_addc_u32 s1, s1, _Z17MT_generate_arrayv@rel32@hi+12
	s_delay_alu instid0(SALU_CYCLE_1)
	s_swappc_b64 s[30:31], s[0:1]
	v_mov_b32_e32 v0, 0
.LBB1_160:                              ;   in Loop: Header=BB1_19 Depth=1
	s_or_b32 exec_lo, exec_lo, s91
	s_and_saveexec_b32 s0, s5
	s_cbranch_execz .LBB1_162
; %bb.161:                              ;   in Loop: Header=BB1_19 Depth=1
	flat_store_b8 v[49:50], v0 dlc
	s_waitcnt_vscnt null, 0x0
.LBB1_162:                              ;   in Loop: Header=BB1_19 Depth=1
	s_or_b32 exec_lo, exec_lo, s0
	v_lshl_or_b32 v0, v0, 7, v142
	s_mov_b32 s91, exec_lo
	s_delay_alu instid0(VALU_DEP_1)
	v_mad_u32_u24 v0, 0x180, v30, v0
	ds_load_b32 v36, v0 offset:6464
	flat_load_u8 v0, v[49:50] glc dlc
	s_waitcnt vmcnt(0) lgkmcnt(0)
	v_add_nc_u32_e32 v2, 1, v0
	v_cmpx_lt_u32_e32 1, v0
	s_cbranch_execz .LBB1_164
; %bb.163:                              ;   in Loop: Header=BB1_19 Depth=1
	s_add_u32 s8, s6, 8
	s_addc_u32 s9, s7, 0
	s_getpc_b64 s[0:1]
	s_add_u32 s0, s0, _Z17MT_generate_arrayv@rel32@lo+4
	s_addc_u32 s1, s1, _Z17MT_generate_arrayv@rel32@hi+12
	s_delay_alu instid0(SALU_CYCLE_1)
	s_swappc_b64 s[30:31], s[0:1]
	v_mov_b32_e32 v2, 0
.LBB1_164:                              ;   in Loop: Header=BB1_19 Depth=1
	s_or_b32 exec_lo, exec_lo, s91
	s_and_saveexec_b32 s0, s5
	s_cbranch_execz .LBB1_166
; %bb.165:                              ;   in Loop: Header=BB1_19 Depth=1
	flat_store_b8 v[49:50], v2 dlc
	s_waitcnt_vscnt null, 0x0
.LBB1_166:                              ;   in Loop: Header=BB1_19 Depth=1
	s_or_b32 exec_lo, exec_lo, s0
	v_and_b32_e32 v0, 1, v153
	v_sub_f32_e32 v1, 1.0, v137
	s_delay_alu instid0(VALU_DEP_2) | instskip(NEXT) | instid1(VALU_DEP_2)
	v_cmp_eq_u32_e32 vcc_lo, 1, v0
	v_cmp_lt_f32_e64 s0, v36, v1
	s_and_b32 s1, s11, vcc_lo
	s_delay_alu instid0(VALU_DEP_1) | instid1(SALU_CYCLE_1)
	s_and_b32 s0, s1, s0
	s_delay_alu instid0(SALU_CYCLE_1) | instskip(SKIP_1) | instid1(SALU_CYCLE_1)
	v_cndmask_b32_e64 v138, v138, 3, s0
	s_xor_b32 s0, s0, -1
	s_and_b32 s0, s0, s11
	s_delay_alu instid0(SALU_CYCLE_1)
	s_and_saveexec_b32 s1, s0
	s_cbranch_execz .LBB1_170
; %bb.167:                              ;   in Loop: Header=BB1_19 Depth=1
	v_and_b32_e32 v0, 0xffff, v154
	v_lshl_or_b32 v2, v2, 7, v142
	v_cmp_nlt_f32_e64 s0, 0x3f82d11e, v24
	v_mov_b32_e32 v138, 6
	s_delay_alu instid0(VALU_DEP_4) | instskip(NEXT) | instid1(VALU_DEP_4)
	v_mad_u32_u24 v0, 0xc8, v0, v152
	v_mad_u32_u24 v2, 0x180, v30, v2
	s_delay_alu instid0(VALU_DEP_2) | instskip(SKIP_2) | instid1(VALU_DEP_1)
	v_ashrrev_i32_e32 v1, 31, v0
	ds_load_b32 v2, v2 offset:6464
	v_lshlrev_b64 v[0:1], 3, v[0:1]
	v_add_co_u32 v3, vcc_lo, s66, v0
	s_delay_alu instid0(VALU_DEP_2) | instskip(SKIP_4) | instid1(VALU_DEP_1)
	v_add_co_ci_u32_e32 v4, vcc_lo, s67, v1, vcc_lo
	global_load_b64 v[3:4], v[3:4], off
	s_waitcnt vmcnt(0)
	v_fmac_f32_e32 v3, v23, v4
	s_waitcnt lgkmcnt(0)
	v_cmp_nle_f32_e32 vcc_lo, v2, v3
	s_or_b32 s2, vcc_lo, s0
	s_delay_alu instid0(SALU_CYCLE_1)
	s_and_saveexec_b32 s0, s2
	s_cbranch_execz .LBB1_169
; %bb.168:                              ;   in Loop: Header=BB1_19 Depth=1
	v_add_co_u32 v0, vcc_lo, s68, v0
	v_add_co_ci_u32_e32 v1, vcc_lo, s69, v1, vcc_lo
	global_load_b64 v[0:1], v[0:1], off
	s_waitcnt vmcnt(0)
	v_fmac_f32_e32 v0, v23, v1
	s_delay_alu instid0(VALU_DEP_1)
	v_cmp_lt_f32_e32 vcc_lo, v2, v0
	v_cndmask_b32_e64 v138, 5, 4, vcc_lo
.LBB1_169:                              ;   in Loop: Header=BB1_19 Depth=1
	s_or_b32 exec_lo, exec_lo, s0
.LBB1_170:                              ;   in Loop: Header=BB1_19 Depth=1
	s_delay_alu instid0(SALU_CYCLE_1) | instskip(SKIP_1) | instid1(VALU_DEP_1)
	s_or_b32 exec_lo, exec_lo, s1
	v_cndmask_b32_e64 v0, 0, 1, s10
	v_cmp_ne_u32_e32 vcc_lo, 0, v0
	s_and_saveexec_b32 s0, s5
	s_cbranch_execz .LBB1_172
; %bb.171:                              ;   in Loop: Header=BB1_19 Depth=1
	flat_load_b32 v0, v[57:58] glc dlc
	s_waitcnt vmcnt(0)
	s_bcnt1_i32_b32 s1, vcc_lo
	s_waitcnt lgkmcnt(0)
	v_add_nc_u32_e32 v0, s1, v0
	flat_store_b32 v[57:58], v0 dlc
	s_waitcnt_vscnt null, 0x0
	flat_load_b32 v0, v[59:60] glc dlc
	s_waitcnt vmcnt(0) lgkmcnt(0)
	v_add_nc_u32_e32 v0, 1, v0
	flat_store_b32 v[59:60], v0 dlc
	s_waitcnt_vscnt null, 0x0
.LBB1_172:                              ;   in Loop: Header=BB1_19 Depth=1
	s_or_b32 exec_lo, exec_lo, s0
.LBB1_173:                              ;   in Loop: Header=BB1_19 Depth=1
	v_mov_b32_e32 v0, v33
	;;#ASMSTART
	;;#ASMEND
	s_delay_alu instid0(VALU_DEP_1)
	v_cmp_ne_u32_e32 vcc_lo, 0, v0
	s_mov_b32 s91, -1
	s_cmp_eq_u32 vcc_lo, exec_lo
	s_cbranch_scc1 .LBB1_211
; %bb.174:                              ;   in Loop: Header=BB1_19 Depth=1
	v_and_b32_e32 v0, 0xff, v138
	s_delay_alu instid0(VALU_DEP_1) | instskip(NEXT) | instid1(VALU_DEP_1)
	v_cmp_eq_u16_e64 s10, 7, v0
	v_cndmask_b32_e64 v23, 0, 1, s10
	s_delay_alu instid0(VALU_DEP_1) | instskip(SKIP_1) | instid1(VALU_DEP_1)
	v_mov_b32_e32 v0, v23
	;;#ASMSTART
	;;#ASMEND
	v_cmp_ne_u32_e32 vcc_lo, 0, v0
	s_cbranch_vccz .LBB1_195
; %bb.175:                              ;   in Loop: Header=BB1_19 Depth=1
	flat_load_u8 v0, v[49:50] glc dlc
	s_waitcnt vmcnt(0) lgkmcnt(0)
	v_cmp_lt_u32_e32 vcc_lo, 1, v0
	v_add_nc_u32_e32 v0, 1, v0
	s_and_saveexec_b32 s11, vcc_lo
	s_cbranch_execz .LBB1_177
; %bb.176:                              ;   in Loop: Header=BB1_19 Depth=1
	s_add_u32 s8, s6, 8
	s_addc_u32 s9, s7, 0
	s_getpc_b64 s[0:1]
	s_add_u32 s0, s0, _Z17MT_generate_arrayv@rel32@lo+4
	s_addc_u32 s1, s1, _Z17MT_generate_arrayv@rel32@hi+12
	s_delay_alu instid0(SALU_CYCLE_1)
	s_swappc_b64 s[30:31], s[0:1]
	v_mov_b32_e32 v0, 0
.LBB1_177:                              ;   in Loop: Header=BB1_19 Depth=1
	s_or_b32 exec_lo, exec_lo, s11
	s_and_saveexec_b32 s0, s5
	s_cbranch_execz .LBB1_179
; %bb.178:                              ;   in Loop: Header=BB1_19 Depth=1
	flat_store_b8 v[49:50], v0 dlc
	s_waitcnt_vscnt null, 0x0
.LBB1_179:                              ;   in Loop: Header=BB1_19 Depth=1
	s_or_b32 exec_lo, exec_lo, s0
	v_lshl_or_b32 v0, v0, 7, v142
	s_delay_alu instid0(VALU_DEP_1)
	v_mad_u32_u24 v0, 0x180, v30, v0
	ds_load_b32 v36, v0 offset:6464
	flat_load_u8 v0, v[49:50] glc dlc
	s_waitcnt vmcnt(0) lgkmcnt(0)
	v_cmp_lt_u32_e32 vcc_lo, 1, v0
	v_add_nc_u32_e32 v0, 1, v0
	s_and_saveexec_b32 s11, vcc_lo
	s_cbranch_execz .LBB1_181
; %bb.180:                              ;   in Loop: Header=BB1_19 Depth=1
	s_add_u32 s8, s6, 8
	s_addc_u32 s9, s7, 0
	s_getpc_b64 s[0:1]
	s_add_u32 s0, s0, _Z17MT_generate_arrayv@rel32@lo+4
	s_addc_u32 s1, s1, _Z17MT_generate_arrayv@rel32@hi+12
	s_delay_alu instid0(SALU_CYCLE_1)
	s_swappc_b64 s[30:31], s[0:1]
	v_mov_b32_e32 v0, 0
.LBB1_181:                              ;   in Loop: Header=BB1_19 Depth=1
	s_or_b32 exec_lo, exec_lo, s11
	s_and_saveexec_b32 s0, s5
	s_cbranch_execz .LBB1_183
; %bb.182:                              ;   in Loop: Header=BB1_19 Depth=1
	flat_store_b8 v[49:50], v0 dlc
	s_waitcnt_vscnt null, 0x0
.LBB1_183:                              ;   in Loop: Header=BB1_19 Depth=1
	s_or_b32 exec_lo, exec_lo, s0
	v_lshl_or_b32 v0, v0, 7, v142
	s_delay_alu instid0(VALU_DEP_1)
	v_mad_u32_u24 v0, 0x180, v30, v0
	ds_load_b32 v37, v0 offset:6464
	flat_load_u8 v0, v[49:50] glc dlc
	s_waitcnt vmcnt(0) lgkmcnt(0)
	v_cmp_lt_u32_e32 vcc_lo, 1, v0
	v_add_nc_u32_e32 v0, 1, v0
	s_and_saveexec_b32 s11, vcc_lo
	s_cbranch_execz .LBB1_185
; %bb.184:                              ;   in Loop: Header=BB1_19 Depth=1
	s_add_u32 s8, s6, 8
	s_addc_u32 s9, s7, 0
	s_getpc_b64 s[0:1]
	s_add_u32 s0, s0, _Z17MT_generate_arrayv@rel32@lo+4
	s_addc_u32 s1, s1, _Z17MT_generate_arrayv@rel32@hi+12
	s_delay_alu instid0(SALU_CYCLE_1)
	s_swappc_b64 s[30:31], s[0:1]
	v_mov_b32_e32 v0, 0
.LBB1_185:                              ;   in Loop: Header=BB1_19 Depth=1
	s_or_b32 exec_lo, exec_lo, s11
	s_and_saveexec_b32 s0, s5
	s_cbranch_execz .LBB1_187
; %bb.186:                              ;   in Loop: Header=BB1_19 Depth=1
	flat_store_b8 v[49:50], v0 dlc
	s_waitcnt_vscnt null, 0x0
.LBB1_187:                              ;   in Loop: Header=BB1_19 Depth=1
	s_or_b32 exec_lo, exec_lo, s0
	v_lshl_or_b32 v0, v0, 7, v142
	s_mov_b32 s11, exec_lo
	s_delay_alu instid0(VALU_DEP_1)
	v_mad_u32_u24 v0, 0x180, v30, v0
	ds_load_b32 v38, v0 offset:6464
	flat_load_u8 v0, v[49:50] glc dlc
	s_waitcnt vmcnt(0) lgkmcnt(0)
	v_add_nc_u32_e32 v4, 1, v0
	v_cmpx_lt_u32_e32 1, v0
	s_cbranch_execnz .LBB1_212
; %bb.188:                              ;   in Loop: Header=BB1_19 Depth=1
	s_or_b32 exec_lo, exec_lo, s11
	s_and_saveexec_b32 s0, s5
	s_cbranch_execnz .LBB1_213
.LBB1_189:                              ;   in Loop: Header=BB1_19 Depth=1
	s_or_b32 exec_lo, exec_lo, s0
	v_mov_b32_e32 v0, 0
	s_and_saveexec_b32 s1, s10
	s_cbranch_execnz .LBB1_214
.LBB1_190:                              ;   in Loop: Header=BB1_19 Depth=1
	s_or_b32 exec_lo, exec_lo, s1
	flat_store_b32 v[61:62], v0 dlc
	s_waitcnt_vscnt null, 0x0
	s_and_saveexec_b32 s0, s5
	s_cbranch_execz .LBB1_192
.LBB1_191:                              ;   in Loop: Header=BB1_19 Depth=1
	flat_load_b32 v0, v[51:52] glc dlc
	s_waitcnt vmcnt(0)
	flat_load_b32 v2, v[75:76] glc dlc
	s_waitcnt vmcnt(0)
	;; [unrolled: 2-line block ×11, first 2 shown]
	flat_load_b32 v14, v[95:96] glc dlc
	s_waitcnt vmcnt(0) lgkmcnt(11)
	v_cvt_f64_f32_e32 v[0:1], v0
	s_waitcnt lgkmcnt(10)
	v_cvt_f64_f32_e32 v[2:3], v2
	s_waitcnt lgkmcnt(9)
	v_cvt_f64_f32_e32 v[4:5], v4
	s_delay_alu instid0(VALU_DEP_3) | instskip(NEXT) | instid1(VALU_DEP_1)
	v_add_f64 v[0:1], v[0:1], 0
	v_add_f64 v[0:1], v[0:1], v[2:3]
	s_waitcnt lgkmcnt(8)
	v_cvt_f64_f32_e32 v[2:3], v6
	flat_load_b32 v6, v[97:98] glc dlc
	s_waitcnt vmcnt(0)
	v_add_f64 v[0:1], v[0:1], v[4:5]
	s_waitcnt lgkmcnt(8)
	v_cvt_f64_f32_e32 v[4:5], v7
	flat_load_b32 v7, v[99:100] glc dlc
	s_waitcnt vmcnt(0)
	;; [unrolled: 5-line block ×18, first 2 shown]
	flat_load_b32 v15, v[133:134] glc dlc
	s_waitcnt vmcnt(0)
	flat_load_b32 v16, v[135:136] glc dlc
	s_waitcnt vmcnt(0)
	v_add_f64 v[0:1], v[0:1], v[2:3]
	s_waitcnt lgkmcnt(10)
	v_cvt_f64_f32_e32 v[2:3], v6
	s_delay_alu instid0(VALU_DEP_2) | instskip(SKIP_2) | instid1(VALU_DEP_2)
	v_add_f64 v[0:1], v[0:1], v[4:5]
	s_waitcnt lgkmcnt(9)
	v_cvt_f64_f32_e32 v[4:5], v7
	v_add_f64 v[0:1], v[0:1], v[2:3]
	s_waitcnt lgkmcnt(8)
	v_cvt_f64_f32_e32 v[2:3], v8
	s_delay_alu instid0(VALU_DEP_2) | instskip(SKIP_4) | instid1(VALU_DEP_3)
	v_add_f64 v[0:1], v[0:1], v[4:5]
	s_waitcnt lgkmcnt(7)
	v_cvt_f64_f32_e32 v[4:5], v9
	s_waitcnt lgkmcnt(6)
	v_cvt_f64_f32_e32 v[6:7], v10
	v_add_f64 v[0:1], v[0:1], v[2:3]
	flat_load_b64 v[2:3], v[47:48] glc dlc
	s_waitcnt vmcnt(0)
	v_add_f64 v[0:1], v[0:1], v[4:5]
	s_waitcnt lgkmcnt(6)
	v_cvt_f64_f32_e32 v[4:5], v11
	s_delay_alu instid0(VALU_DEP_2) | instskip(SKIP_2) | instid1(VALU_DEP_2)
	v_add_f64 v[0:1], v[0:1], v[6:7]
	s_waitcnt lgkmcnt(5)
	v_cvt_f64_f32_e32 v[6:7], v12
	v_add_f64 v[0:1], v[0:1], v[4:5]
	s_waitcnt lgkmcnt(4)
	v_cvt_f64_f32_e32 v[4:5], v13
	s_delay_alu instid0(VALU_DEP_2) | instskip(SKIP_2) | instid1(VALU_DEP_2)
	v_add_f64 v[0:1], v[0:1], v[6:7]
	s_waitcnt lgkmcnt(3)
	v_cvt_f64_f32_e32 v[6:7], v14
	v_add_f64 v[0:1], v[0:1], v[4:5]
	s_waitcnt lgkmcnt(2)
	v_cvt_f64_f32_e32 v[4:5], v15
	s_delay_alu instid0(VALU_DEP_2) | instskip(NEXT) | instid1(VALU_DEP_1)
	v_add_f64 v[0:1], v[0:1], v[6:7]
	v_add_f64 v[0:1], v[0:1], v[4:5]
	s_waitcnt lgkmcnt(1)
	v_cvt_f64_f32_e32 v[4:5], v16
	s_delay_alu instid0(VALU_DEP_1) | instskip(SKIP_1) | instid1(VALU_DEP_1)
	v_add_f64 v[0:1], v[0:1], v[4:5]
	s_waitcnt lgkmcnt(0)
	v_add_f64 v[0:1], v[0:1], v[2:3]
	flat_store_b64 v[47:48], v[0:1] dlc
	s_waitcnt_vscnt null, 0x0
.LBB1_192:                              ;   in Loop: Header=BB1_19 Depth=1
	s_or_b32 exec_lo, exec_lo, s0
	v_cndmask_b32_e64 v0, 0, 1, s10
	s_delay_alu instid0(VALU_DEP_1)
	v_cmp_ne_u32_e32 vcc_lo, 0, v0
	s_and_saveexec_b32 s0, s5
	s_cbranch_execz .LBB1_194
; %bb.193:                              ;   in Loop: Header=BB1_19 Depth=1
	flat_load_b32 v0, v[63:64] glc dlc
	s_waitcnt vmcnt(0)
	s_bcnt1_i32_b32 s1, vcc_lo
	s_waitcnt lgkmcnt(0)
	v_add_nc_u32_e32 v0, s1, v0
	flat_store_b32 v[63:64], v0 dlc
	s_waitcnt_vscnt null, 0x0
	flat_load_b32 v0, v[59:60] glc dlc
	s_waitcnt vmcnt(0) lgkmcnt(0)
	v_add_nc_u32_e32 v0, 1, v0
	flat_store_b32 v[59:60], v0 dlc
	s_waitcnt_vscnt null, 0x0
.LBB1_194:                              ;   in Loop: Header=BB1_19 Depth=1
	s_or_b32 exec_lo, exec_lo, s0
.LBB1_195:                              ;   in Loop: Header=BB1_19 Depth=1
	v_or_b32_e32 v12, v23, v33
	s_delay_alu instid0(VALU_DEP_1) | instskip(SKIP_1) | instid1(VALU_DEP_1)
	v_mov_b32_e32 v0, v12
	;;#ASMSTART
	;;#ASMEND
	v_cmp_ne_u32_e32 vcc_lo, 0, v0
	s_cmp_eq_u32 vcc_lo, exec_lo
	s_cbranch_scc1 .LBB1_394
; %bb.196:                              ;   in Loop: Header=BB1_19 Depth=1
	v_and_b32_e32 v0, 0xff, v138
	s_delay_alu instid0(VALU_DEP_1) | instskip(NEXT) | instid1(VALU_DEP_1)
	v_cmp_eq_u16_e64 s0, 1, v0
	v_cndmask_b32_e64 v23, 0, 1, s0
	s_delay_alu instid0(VALU_DEP_1) | instskip(SKIP_1) | instid1(VALU_DEP_1)
	v_mov_b32_e32 v0, v23
	;;#ASMSTART
	;;#ASMEND
	v_cmp_ne_u32_e32 vcc_lo, 0, v0
	s_cbranch_vccz .LBB1_294
; %bb.197:                              ;   in Loop: Header=BB1_19 Depth=1
	s_and_saveexec_b32 s10, s0
	s_cbranch_execz .LBB1_291
; %bb.198:                              ;   in Loop: Header=BB1_19 Depth=1
	v_and_b32_e32 v0, 0xff, v144
	v_cmp_eq_u32_e64 s1, 0, v39
	s_waitcnt vmcnt(0)
	v_cmp_neq_f32_e64 s2, 0, v29
	v_mov_b32_e32 v138, 8
	v_cmp_eq_u16_e32 vcc_lo, 0, v0
	s_and_b32 s1, vcc_lo, s1
	s_delay_alu instid0(VALU_DEP_3) | instid1(SALU_CYCLE_1)
	s_and_b32 s1, s1, s2
	s_delay_alu instid0(SALU_CYCLE_1)
	s_and_saveexec_b32 s11, s1
	s_cbranch_execz .LBB1_290
; %bb.199:                              ;   in Loop: Header=BB1_19 Depth=1
	v_sub_f32_e32 v0, s22, v35
	s_mov_b32 s30, exec_lo
	v_mov_b32_e32 v138, 8
	s_delay_alu instid0(VALU_DEP_2) | instskip(SKIP_1) | instid1(VALU_DEP_2)
	v_div_scale_f32 v1, null, v29, v29, v0
	v_div_scale_f32 v4, vcc_lo, v0, v29, v0
	v_rcp_f32_e32 v2, v1
	s_waitcnt_depctr 0xfff
	v_fma_f32 v3, -v1, v2, 1.0
	s_delay_alu instid0(VALU_DEP_1) | instskip(NEXT) | instid1(VALU_DEP_1)
	v_fmac_f32_e32 v2, v3, v2
	v_mul_f32_e32 v3, v4, v2
	s_delay_alu instid0(VALU_DEP_1) | instskip(NEXT) | instid1(VALU_DEP_1)
	v_fma_f32 v5, -v1, v3, v4
	v_fmac_f32_e32 v3, v5, v2
	s_delay_alu instid0(VALU_DEP_1) | instskip(NEXT) | instid1(VALU_DEP_1)
	v_fma_f32 v1, -v1, v3, v4
	v_div_fmas_f32 v1, v1, v2, v3
	s_delay_alu instid0(VALU_DEP_1) | instskip(NEXT) | instid1(VALU_DEP_1)
	v_div_fixup_f32 v1, v1, v29, v0
	v_cmpx_ngt_f32_e32 0, v1
	s_cbranch_execz .LBB1_289
; %bb.200:                              ;   in Loop: Header=BB1_19 Depth=1
	v_fma_f32 v0, v27, v1, v143
	s_delay_alu instid0(VALU_DEP_1) | instskip(NEXT) | instid1(VALU_DEP_1)
	v_subrev_f32_e32 v0, s20, v0
	v_div_scale_f32 v2, null, s24, s24, v0
	s_delay_alu instid0(VALU_DEP_1) | instskip(SKIP_2) | instid1(VALU_DEP_1)
	v_rcp_f32_e32 v3, v2
	s_waitcnt_depctr 0xfff
	v_fma_f32 v4, -v2, v3, 1.0
	v_fmac_f32_e32 v3, v4, v3
	v_div_scale_f32 v5, vcc_lo, v0, s24, v0
	s_delay_alu instid0(VALU_DEP_1) | instskip(NEXT) | instid1(VALU_DEP_1)
	v_mul_f32_e32 v4, v5, v3
	v_fma_f32 v6, -v2, v4, v5
	s_delay_alu instid0(VALU_DEP_1) | instskip(NEXT) | instid1(VALU_DEP_1)
	v_fmac_f32_e32 v4, v6, v3
	v_fma_f32 v2, -v2, v4, v5
	s_delay_alu instid0(VALU_DEP_1) | instskip(NEXT) | instid1(VALU_DEP_1)
	v_div_fmas_f32 v2, v2, v3, v4
	v_div_fixup_f32 v0, v2, s24, v0
	s_delay_alu instid0(VALU_DEP_1) | instskip(NEXT) | instid1(VALU_DEP_1)
	v_add_f32_e32 v3, v0, v149
	v_floor_f32_e32 v2, v3
	v_sub_nc_u32_e32 v0, 0x80000000, v3
	v_cmp_gt_i32_e32 vcc_lo, 0, v3
	s_delay_alu instid0(VALU_DEP_3) | instskip(NEXT) | instid1(VALU_DEP_3)
	v_sub_nc_u32_e32 v5, 0x80000000, v2
	v_cndmask_b32_e32 v4, v3, v0, vcc_lo
	v_cmp_gt_i32_e32 vcc_lo, 0, v2
	s_delay_alu instid0(VALU_DEP_3) | instskip(NEXT) | instid1(VALU_DEP_1)
	v_cndmask_b32_e32 v0, v2, v5, vcc_lo
	v_sub_nc_u32_e32 v0, v4, v0
	s_delay_alu instid0(VALU_DEP_1) | instskip(NEXT) | instid1(VALU_DEP_1)
	v_sub_nc_u32_e32 v5, 0, v0
	v_max_i32_e32 v0, v0, v5
	s_delay_alu instid0(VALU_DEP_1)
	v_cmp_lt_u32_e32 vcc_lo, 20, v0
	v_mov_b32_e32 v0, 1
	s_and_saveexec_b32 s1, vcc_lo
; %bb.201:                              ;   in Loop: Header=BB1_19 Depth=1
	v_ceil_f32_e32 v0, v3
	s_delay_alu instid0(VALU_DEP_1) | instskip(SKIP_1) | instid1(VALU_DEP_2)
	v_sub_nc_u32_e32 v3, 0x80000000, v0
	v_cmp_gt_i32_e32 vcc_lo, 0, v0
	v_cndmask_b32_e32 v3, v0, v3, vcc_lo
	s_delay_alu instid0(VALU_DEP_1) | instskip(NEXT) | instid1(VALU_DEP_1)
	v_sub_nc_u32_e32 v3, v4, v3
	v_sub_nc_u32_e32 v4, 0, v3
	s_delay_alu instid0(VALU_DEP_1) | instskip(NEXT) | instid1(VALU_DEP_1)
	v_max_i32_e32 v3, v3, v4
	v_cmp_gt_u32_e32 vcc_lo, 21, v3
	v_cndmask_b32_e32 v2, v2, v0, vcc_lo
	v_cndmask_b32_e64 v0, 0, 1, vcc_lo
; %bb.202:                              ;   in Loop: Header=BB1_19 Depth=1
	s_or_b32 exec_lo, exec_lo, s1
	v_fma_f32 v1, v28, v1, v34
	s_delay_alu instid0(VALU_DEP_1) | instskip(NEXT) | instid1(VALU_DEP_1)
	v_subrev_f32_e32 v1, s21, v1
	v_div_scale_f32 v3, null, s25, s25, v1
	s_delay_alu instid0(VALU_DEP_1) | instskip(SKIP_2) | instid1(VALU_DEP_1)
	v_rcp_f32_e32 v4, v3
	s_waitcnt_depctr 0xfff
	v_fma_f32 v5, -v3, v4, 1.0
	v_fmac_f32_e32 v4, v5, v4
	v_div_scale_f32 v6, vcc_lo, v1, s25, v1
	s_delay_alu instid0(VALU_DEP_1) | instskip(NEXT) | instid1(VALU_DEP_1)
	v_mul_f32_e32 v5, v6, v4
	v_fma_f32 v7, -v3, v5, v6
	s_delay_alu instid0(VALU_DEP_1) | instskip(NEXT) | instid1(VALU_DEP_1)
	v_fmac_f32_e32 v5, v7, v4
	v_fma_f32 v3, -v3, v5, v6
	s_delay_alu instid0(VALU_DEP_1) | instskip(NEXT) | instid1(VALU_DEP_1)
	v_div_fmas_f32 v3, v3, v4, v5
	v_div_fixup_f32 v1, v3, s25, v1
	s_delay_alu instid0(VALU_DEP_1) | instskip(NEXT) | instid1(VALU_DEP_1)
	v_add_f32_e32 v1, v1, v150
	v_floor_f32_e32 v3, v1
	v_sub_nc_u32_e32 v4, 0x80000000, v1
	v_cmp_gt_i32_e32 vcc_lo, 0, v1
	s_delay_alu instid0(VALU_DEP_3) | instskip(NEXT) | instid1(VALU_DEP_3)
	v_sub_nc_u32_e32 v6, 0x80000000, v3
	v_cndmask_b32_e32 v5, v1, v4, vcc_lo
	v_cmp_gt_i32_e32 vcc_lo, 0, v3
	s_delay_alu instid0(VALU_DEP_3) | instskip(NEXT) | instid1(VALU_DEP_1)
	v_cndmask_b32_e32 v4, v3, v6, vcc_lo
	v_sub_nc_u32_e32 v4, v5, v4
	s_delay_alu instid0(VALU_DEP_1) | instskip(NEXT) | instid1(VALU_DEP_1)
	v_sub_nc_u32_e32 v6, 0, v4
	v_max_i32_e32 v4, v4, v6
	s_delay_alu instid0(VALU_DEP_1) | instskip(SKIP_2) | instid1(SALU_CYCLE_1)
	v_cmp_lt_u32_e32 vcc_lo, 20, v4
	v_or_b32_e32 v4, 2, v0
	s_and_saveexec_b32 s1, vcc_lo
	s_xor_b32 s1, exec_lo, s1
; %bb.203:                              ;   in Loop: Header=BB1_19 Depth=1
	v_ceil_f32_e32 v1, v1
	s_delay_alu instid0(VALU_DEP_1) | instskip(SKIP_1) | instid1(VALU_DEP_2)
	v_sub_nc_u32_e32 v4, 0x80000000, v1
	v_cmp_gt_i32_e32 vcc_lo, 0, v1
	v_cndmask_b32_e32 v4, v1, v4, vcc_lo
	s_delay_alu instid0(VALU_DEP_1) | instskip(NEXT) | instid1(VALU_DEP_1)
	v_sub_nc_u32_e32 v4, v5, v4
	v_sub_nc_u32_e32 v5, 0, v4
	s_delay_alu instid0(VALU_DEP_1) | instskip(SKIP_1) | instid1(VALU_DEP_2)
	v_max_i32_e32 v4, v4, v5
	v_or_b32_e32 v5, 2, v0
	v_cmp_gt_u32_e32 vcc_lo, 21, v4
	v_cndmask_b32_e32 v3, v3, v1, vcc_lo
	s_delay_alu instid0(VALU_DEP_3)
	v_cndmask_b32_e32 v4, v0, v5, vcc_lo
; %bb.204:                              ;   in Loop: Header=BB1_19 Depth=1
	s_and_not1_saveexec_b32 s1, s1
	s_delay_alu instid0(SALU_CYCLE_1)
	s_or_b32 exec_lo, exec_lo, s1
	s_mov_b32 s2, 0
	s_mov_b32 s1, exec_lo
                                        ; implicit-def: $vgpr0_vgpr1
	v_cmpx_lt_i32_e32 0, v32
	s_xor_b32 s1, exec_lo, s1
	s_cbranch_execnz .LBB1_217
; %bb.205:                              ;   in Loop: Header=BB1_19 Depth=1
	s_and_not1_saveexec_b32 s1, s1
	s_cbranch_execnz .LBB1_226
.LBB1_206:                              ;   in Loop: Header=BB1_19 Depth=1
	s_or_b32 exec_lo, exec_lo, s1
	s_and_saveexec_b32 s1, s2
.LBB1_207:                              ;   in Loop: Header=BB1_19 Depth=1
	v_mov_b32_e32 v0, 3
	v_mov_b32_e32 v1, 0
.LBB1_208:                              ;   in Loop: Header=BB1_19 Depth=1
	s_or_b32 exec_lo, exec_lo, s1
	v_cvt_i32_f32_e32 v13, v3
	v_cvt_i32_f32_e32 v2, v2
	s_mov_b32 s4, 0
                                        ; implicit-def: $vgpr138
                                        ; implicit-def: $vgpr3
                                        ; implicit-def: $vgpr8
	s_mov_b32 s1, exec_lo
	v_cmpx_lt_i32_e32 1, v4
	s_xor_b32 s31, exec_lo, s1
	s_cbranch_execnz .LBB1_227
; %bb.209:                              ;   in Loop: Header=BB1_19 Depth=1
	s_or_saveexec_b32 s8, s31
	v_mov_b32_e32 v9, v8
	s_xor_b32 exec_lo, exec_lo, s8
	s_cbranch_execnz .LBB1_264
.LBB1_210:                              ;   in Loop: Header=BB1_19 Depth=1
	s_or_b32 exec_lo, exec_lo, s8
	s_and_saveexec_b32 s1, s4
	s_cbranch_execnz .LBB1_283
	s_branch .LBB1_288
.LBB1_211:                              ;   in Loop: Header=BB1_19 Depth=1
	s_mov_b32 s0, -1
                                        ; implicit-def: $vgpr23
	s_branch .LBB1_395
.LBB1_212:                              ;   in Loop: Header=BB1_19 Depth=1
	s_add_u32 s8, s6, 8
	s_addc_u32 s9, s7, 0
	s_getpc_b64 s[0:1]
	s_add_u32 s0, s0, _Z17MT_generate_arrayv@rel32@lo+4
	s_addc_u32 s1, s1, _Z17MT_generate_arrayv@rel32@hi+12
	s_delay_alu instid0(SALU_CYCLE_1)
	s_swappc_b64 s[30:31], s[0:1]
	v_mov_b32_e32 v4, 0
	s_or_b32 exec_lo, exec_lo, s11
	s_and_saveexec_b32 s0, s5
	s_cbranch_execz .LBB1_189
.LBB1_213:                              ;   in Loop: Header=BB1_19 Depth=1
	flat_store_b8 v[49:50], v4 dlc
	s_waitcnt_vscnt null, 0x0
	s_or_b32 exec_lo, exec_lo, s0
	v_mov_b32_e32 v0, 0
	s_and_saveexec_b32 s1, s10
	s_cbranch_execz .LBB1_190
.LBB1_214:                              ;   in Loop: Header=BB1_19 Depth=1
	v_mul_f32_e32 v0, v38, v148
	v_lshl_or_b32 v4, v4, 7, v142
	s_mov_b32 s0, exec_lo
	s_delay_alu instid0(VALU_DEP_2) | instskip(NEXT) | instid1(VALU_DEP_2)
	v_cvt_i32_f32_e32 v0, v0
	v_mad_u32_u24 v4, 0x180, v30, v4
	s_delay_alu instid0(VALU_DEP_2) | instskip(SKIP_2) | instid1(VALU_DEP_1)
	v_ashrrev_i32_e32 v1, 31, v0
	ds_load_b32 v4, v4 offset:6464
	v_lshlrev_b64 v[2:3], 2, v[0:1]
	v_add_co_u32 v5, vcc_lo, s42, v2
	s_delay_alu instid0(VALU_DEP_2) | instskip(SKIP_2) | instid1(VALU_DEP_1)
	v_add_co_ci_u32_e32 v6, vcc_lo, s43, v3, vcc_lo
	global_load_b32 v5, v[5:6], off
	v_cvt_f32_i32_e32 v6, v0
	v_fma_f32 v6, v38, v148, -v6
	s_waitcnt vmcnt(0)
	s_delay_alu instid0(VALU_DEP_1)
	v_cmpx_gt_f32_e32 v6, v5
	s_cbranch_execz .LBB1_216
; %bb.215:                              ;   in Loop: Header=BB1_19 Depth=1
	v_add_co_u32 v0, vcc_lo, s64, v2
	v_add_co_ci_u32_e32 v1, vcc_lo, s65, v3, vcc_lo
	global_load_b32 v0, v[0:1], off
	s_waitcnt vmcnt(0)
	v_ashrrev_i32_e32 v1, 31, v0
.LBB1_216:                              ;   in Loop: Header=BB1_19 Depth=1
	s_or_b32 exec_lo, exec_lo, s0
	s_delay_alu instid0(VALU_DEP_1) | instskip(SKIP_3) | instid1(VALU_DEP_4)
	v_lshlrev_b64 v[0:1], 2, v[0:1]
	v_dual_mov_b32 v26, 0 :: v_dual_mov_b32 v143, s36
	v_dual_mov_b32 v34, s37 :: v_dual_mov_b32 v35, s38
	v_mov_b32_e32 v39, 0
	v_add_co_u32 v0, vcc_lo, s40, v0
	v_add_co_ci_u32_e32 v1, vcc_lo, s41, v1, vcc_lo
	v_mov_b32_e32 v138, 2
	global_load_b64 v[24:25], v[0:1], off
	v_fma_f32 v0, v37, s45, s71
	v_fma_f32 v1, v36, s44, s70
	s_delay_alu instid0(VALU_DEP_1) | instskip(NEXT) | instid1(VALU_DEP_1)
	v_dual_subrev_f32 v0, s37, v0 :: v_dual_subrev_f32 v1, s36, v1
	v_mul_f32_e32 v2, v0, v0
	s_delay_alu instid0(VALU_DEP_1) | instskip(NEXT) | instid1(VALU_DEP_1)
	v_fmac_f32_e32 v2, v1, v1
	v_add_f32_e32 v2, v151, v2
	s_delay_alu instid0(VALU_DEP_1) | instskip(SKIP_1) | instid1(VALU_DEP_2)
	v_div_scale_f32 v3, null, v2, v2, 1.0
	v_div_scale_f32 v7, vcc_lo, 1.0, v2, 1.0
	v_rcp_f32_e32 v5, v3
	s_waitcnt_depctr 0xfff
	v_fma_f32 v6, -v3, v5, 1.0
	s_delay_alu instid0(VALU_DEP_1) | instskip(NEXT) | instid1(VALU_DEP_1)
	v_fmac_f32_e32 v5, v6, v5
	v_mul_f32_e32 v6, v7, v5
	s_delay_alu instid0(VALU_DEP_1) | instskip(NEXT) | instid1(VALU_DEP_1)
	v_fma_f32 v8, -v3, v6, v7
	v_fmac_f32_e32 v6, v8, v5
	s_delay_alu instid0(VALU_DEP_1) | instskip(NEXT) | instid1(VALU_DEP_1)
	v_fma_f32 v3, -v3, v6, v7
	v_div_fmas_f32 v3, v3, v5, v6
	s_delay_alu instid0(VALU_DEP_1) | instskip(NEXT) | instid1(VALU_DEP_1)
	v_div_fixup_f32 v2, v3, v2, 1.0
	v_mul_f32_e32 v3, 0x4f800000, v2
	v_cmp_gt_f32_e32 vcc_lo, 0xf800000, v2
	s_delay_alu instid0(VALU_DEP_2) | instskip(NEXT) | instid1(VALU_DEP_1)
	v_cndmask_b32_e32 v3, v2, v3, vcc_lo
	v_sqrt_f32_e32 v5, v3
	s_waitcnt_depctr 0xfff
	v_add_nc_u32_e32 v6, -1, v5
	v_add_nc_u32_e32 v7, 1, v5
	s_delay_alu instid0(VALU_DEP_2) | instskip(NEXT) | instid1(VALU_DEP_2)
	v_fma_f32 v8, -v6, v5, v3
	v_fma_f32 v9, -v7, v5, v3
	s_delay_alu instid0(VALU_DEP_2) | instskip(NEXT) | instid1(VALU_DEP_1)
	v_cmp_ge_f32_e64 s0, 0, v8
	v_cndmask_b32_e64 v5, v5, v6, s0
	s_delay_alu instid0(VALU_DEP_3) | instskip(NEXT) | instid1(VALU_DEP_1)
	v_cmp_lt_f32_e64 s0, 0, v9
	v_cndmask_b32_e64 v5, v5, v7, s0
	s_delay_alu instid0(VALU_DEP_1) | instskip(NEXT) | instid1(VALU_DEP_1)
	v_mul_f32_e32 v6, 0x37800000, v5
	v_cndmask_b32_e32 v5, v5, v6, vcc_lo
	v_cmp_class_f32_e64 vcc_lo, v3, 0x260
	s_delay_alu instid0(VALU_DEP_2) | instskip(NEXT) | instid1(VALU_DEP_1)
	v_dual_cndmask_b32 v3, v5, v3 :: v_dual_mov_b32 v32, v39
	v_mul_f32_e32 v27, v1, v3
	v_mul_f32_e32 v29, v146, v3
	;; [unrolled: 1-line block ×3, first 2 shown]
	s_delay_alu instid0(VALU_DEP_2) | instskip(SKIP_2) | instid1(VALU_DEP_2)
	v_mul_f32_e64 v5, s46, |v29|
	v_mov_b32_e32 v144, 0
	s_waitcnt vmcnt(0)
	v_dual_sub_f32 v6, v25, v24 :: v_dual_mul_f32 v25, v2, v5
	s_waitcnt lgkmcnt(0)
	s_delay_alu instid0(VALU_DEP_1) | instskip(NEXT) | instid1(VALU_DEP_2)
	v_fmac_f32_e32 v24, v4, v6
	v_mov_b32_e32 v0, v25
	s_or_b32 exec_lo, exec_lo, s1
	flat_store_b32 v[61:62], v0 dlc
	s_waitcnt_vscnt null, 0x0
	s_and_saveexec_b32 s0, s5
	s_cbranch_execnz .LBB1_191
	s_branch .LBB1_192
.LBB1_217:                              ;   in Loop: Header=BB1_19 Depth=1
	s_mov_b32 s4, 0
	s_mov_b32 s8, exec_lo
                                        ; implicit-def: $sgpr2_sgpr3
	v_cmpx_lt_i32_e32 0xffff, v32
	s_xor_b32 s8, exec_lo, s8
	s_cbranch_execz .LBB1_221
; %bb.218:                              ;   in Loop: Header=BB1_19 Depth=1
	s_mov_b32 s4, -1
	s_mov_b32 s9, exec_lo
                                        ; implicit-def: $sgpr2_sgpr3
	v_cmpx_eq_u32_e32 0x10000, v32
; %bb.219:                              ;   in Loop: Header=BB1_19 Depth=1
	s_mov_b64 s[2:3], 2
	s_xor_b32 s4, exec_lo, -1
; %bb.220:                              ;   in Loop: Header=BB1_19 Depth=1
	s_or_b32 exec_lo, exec_lo, s9
	s_delay_alu instid0(SALU_CYCLE_1)
	s_and_b32 s4, s4, exec_lo
.LBB1_221:                              ;   in Loop: Header=BB1_19 Depth=1
	s_or_saveexec_b32 s8, s8
	v_dual_mov_b32 v0, s2 :: v_dual_mov_b32 v1, s3
	s_xor_b32 exec_lo, exec_lo, s8
	s_cbranch_execz .LBB1_225
; %bb.222:                              ;   in Loop: Header=BB1_19 Depth=1
	s_mov_b32 s9, -1
	s_mov_b32 s31, exec_lo
                                        ; implicit-def: $sgpr2_sgpr3
	v_cmpx_eq_u32_e32 1, v32
; %bb.223:                              ;   in Loop: Header=BB1_19 Depth=1
	s_mov_b64 s[2:3], 1
	s_xor_b32 s9, exec_lo, -1
; %bb.224:                              ;   in Loop: Header=BB1_19 Depth=1
	s_or_b32 exec_lo, exec_lo, s31
	v_dual_mov_b32 v0, s2 :: v_dual_mov_b32 v1, s3
	s_and_not1_b32 s2, s4, exec_lo
	s_and_b32 s3, s9, exec_lo
	s_delay_alu instid0(SALU_CYCLE_1)
	s_or_b32 s4, s2, s3
.LBB1_225:                              ;   in Loop: Header=BB1_19 Depth=1
	s_or_b32 exec_lo, exec_lo, s8
	s_delay_alu instid0(SALU_CYCLE_1)
	s_and_b32 s2, s4, exec_lo
	s_and_not1_saveexec_b32 s1, s1
	s_cbranch_execz .LBB1_206
.LBB1_226:                              ;   in Loop: Header=BB1_19 Depth=1
	v_mov_b32_e32 v33, v40
	v_cmp_ne_u32_e32 vcc_lo, 0, v32
	v_mov_b32_e32 v0, v32
	s_and_not1_b32 s2, s2, exec_lo
	s_delay_alu instid0(VALU_DEP_3) | instskip(SKIP_1) | instid1(SALU_CYCLE_1)
	v_mov_b32_e32 v1, v33
	s_and_b32 s3, vcc_lo, exec_lo
	s_or_b32 s2, s2, s3
	s_or_b32 exec_lo, exec_lo, s1
	s_and_saveexec_b32 s1, s2
	s_cbranch_execnz .LBB1_207
	s_branch .LBB1_208
.LBB1_227:                              ;   in Loop: Header=BB1_19 Depth=1
                                        ; implicit-def: $sgpr2
                                        ; implicit-def: $vgpr3
                                        ; implicit-def: $vgpr8
	s_mov_b32 s1, exec_lo
	v_cmpx_lt_i32_e32 2, v4
	s_xor_b32 s92, exec_lo, s1
	s_cbranch_execz .LBB1_251
; %bb.228:                              ;   in Loop: Header=BB1_19 Depth=1
	v_mul_f32_e32 v25, 0x3e800000, v25
	v_cmp_lt_i32_e64 s1, -1, v2
	s_delay_alu instid0(VALU_DEP_2) | instskip(NEXT) | instid1(VALU_DEP_2)
	v_mul_f32_e32 v24, v25, v24
	s_and_saveexec_b32 s4, s1
	s_cbranch_execz .LBB1_234
; %bb.229:                              ;   in Loop: Header=BB1_19 Depth=1
	v_cmp_gt_i32_e32 vcc_lo, s26, v2
	v_cmp_lt_i32_e64 s2, -1, v13
	v_cmp_gt_i32_e64 s3, s27, v13
	s_delay_alu instid0(VALU_DEP_2)
	s_and_b32 s2, vcc_lo, s2
	s_delay_alu instid0(VALU_DEP_1) | instid1(SALU_CYCLE_1)
	s_and_b32 s2, s2, s3
	s_delay_alu instid0(SALU_CYCLE_1)
	s_and_b32 exec_lo, exec_lo, s2
	s_cbranch_execz .LBB1_234
; %bb.230:                              ;   in Loop: Header=BB1_19 Depth=1
	v_lshlrev_b64 v[3:4], 3, v[0:1]
	s_getpc_b64 s[8:9]
	s_add_u32 s8, s8, detector_scores_count@rel32@lo+4
	s_addc_u32 s9, s9, detector_scores_count@rel32@hi+12
	s_lshl_b64 s[2:3], s[28:29], 5
	s_delay_alu instid0(SALU_CYCLE_1)
	s_add_u32 s8, s2, s8
	s_addc_u32 s9, s3, s9
	v_add_co_u32 v5, vcc_lo, s8, v3
	v_add_co_ci_u32_e32 v6, vcc_lo, s9, v4, vcc_lo
	s_mov_b32 s8, 0
	global_load_b64 v[7:8], v[5:6], off
	v_mad_u64_u32 v[5:6], null, s26, v13, v[2:3]
	v_mov_b32_e32 v6, v40
	s_delay_alu instid0(VALU_DEP_1) | instskip(SKIP_1) | instid1(VALU_DEP_1)
	v_lshlrev_b64 v[5:6], 2, v[5:6]
	s_waitcnt vmcnt(0)
	v_add_co_u32 v7, vcc_lo, v7, v5
	s_delay_alu instid0(VALU_DEP_2)
	v_add_co_ci_u32_e32 v8, vcc_lo, v8, v6, vcc_lo
	global_load_b32 v10, v[7:8], off
.LBB1_231:                              ;   Parent Loop BB1_19 Depth=1
                                        ; =>  This Inner Loop Header: Depth=2
	s_waitcnt vmcnt(0)
	v_add_f32_e32 v9, v10, v25
	global_atomic_cmpswap_b32 v9, v[7:8], v[9:10], off glc
	s_waitcnt vmcnt(0)
	v_cmp_eq_u32_e32 vcc_lo, v9, v10
	v_mov_b32_e32 v10, v9
	s_or_b32 s8, vcc_lo, s8
	s_delay_alu instid0(SALU_CYCLE_1)
	s_and_not1_b32 exec_lo, exec_lo, s8
	s_cbranch_execnz .LBB1_231
; %bb.232:                              ;   in Loop: Header=BB1_19 Depth=1
	s_or_b32 exec_lo, exec_lo, s8
	s_getpc_b64 s[8:9]
	s_add_u32 s8, s8, detector_scores_energy@rel32@lo+4
	s_addc_u32 s9, s9, detector_scores_energy@rel32@hi+12
	s_add_u32 s2, s2, s8
	s_addc_u32 s3, s3, s9
	v_add_co_u32 v3, vcc_lo, s2, v3
	v_add_co_ci_u32_e32 v4, vcc_lo, s3, v4, vcc_lo
	s_mov_b32 s2, 0
	global_load_b64 v[3:4], v[3:4], off
	s_waitcnt vmcnt(0)
	v_add_co_u32 v3, vcc_lo, v3, v5
	v_add_co_ci_u32_e32 v4, vcc_lo, v4, v6, vcc_lo
	global_load_b32 v6, v[3:4], off
.LBB1_233:                              ;   Parent Loop BB1_19 Depth=1
                                        ; =>  This Inner Loop Header: Depth=2
	s_waitcnt vmcnt(0)
	v_add_f32_e32 v5, v6, v24
	global_atomic_cmpswap_b32 v5, v[3:4], v[5:6], off glc
	s_waitcnt vmcnt(0)
	v_cmp_eq_u32_e32 vcc_lo, v5, v6
	v_mov_b32_e32 v6, v5
	s_or_b32 s2, vcc_lo, s2
	s_delay_alu instid0(SALU_CYCLE_1)
	s_and_not1_b32 exec_lo, exec_lo, s2
	s_cbranch_execnz .LBB1_233
.LBB1_234:                              ;   in Loop: Header=BB1_19 Depth=1
	s_or_b32 exec_lo, exec_lo, s4
	v_add_nc_u32_e32 v5, -1, v2
	v_cmp_lt_i32_e32 vcc_lo, 0, v2
	s_and_saveexec_b32 s93, vcc_lo
	s_cbranch_execz .LBB1_240
; %bb.235:                              ;   in Loop: Header=BB1_19 Depth=1
	v_cmp_lt_i32_e64 s2, -1, v13
	v_cmp_gt_i32_e64 s3, s27, v13
	v_cmp_ge_i32_e64 s4, s26, v2
	s_delay_alu instid0(VALU_DEP_2)
	s_and_b32 s2, s2, s3
	s_delay_alu instid0(VALU_DEP_1) | instid1(SALU_CYCLE_1)
	s_and_b32 s2, s2, s4
	s_delay_alu instid0(SALU_CYCLE_1)
	s_and_b32 exec_lo, exec_lo, s2
	s_cbranch_execz .LBB1_240
; %bb.236:                              ;   in Loop: Header=BB1_19 Depth=1
	v_lshlrev_b64 v[3:4], 3, v[0:1]
	s_getpc_b64 s[2:3]
	s_add_u32 s2, s2, detector_scores_count@rel32@lo+4
	s_addc_u32 s3, s3, detector_scores_count@rel32@hi+12
	s_lshl_b64 s[8:9], s[28:29], 5
	s_delay_alu instid0(SALU_CYCLE_1) | instskip(SKIP_2) | instid1(VALU_DEP_1)
	s_add_u32 s2, s8, s2
	s_addc_u32 s3, s9, s3
	v_add_co_u32 v6, s2, s2, v3
	v_add_co_ci_u32_e64 v7, s2, s3, v4, s2
	s_mov_b32 s3, 0
	global_load_b64 v[8:9], v[6:7], off
	v_mad_u64_u32 v[6:7], null, s26, v13, v[5:6]
	v_mov_b32_e32 v7, v40
	s_delay_alu instid0(VALU_DEP_1) | instskip(SKIP_1) | instid1(VALU_DEP_1)
	v_lshlrev_b64 v[6:7], 2, v[6:7]
	s_waitcnt vmcnt(0)
	v_add_co_u32 v8, s2, v8, v6
	s_delay_alu instid0(VALU_DEP_1)
	v_add_co_ci_u32_e64 v9, s2, v9, v7, s2
	global_load_b32 v11, v[8:9], off
.LBB1_237:                              ;   Parent Loop BB1_19 Depth=1
                                        ; =>  This Inner Loop Header: Depth=2
	s_waitcnt vmcnt(0)
	v_add_f32_e32 v10, v11, v25
	global_atomic_cmpswap_b32 v10, v[8:9], v[10:11], off glc
	s_waitcnt vmcnt(0)
	v_cmp_eq_u32_e64 s2, v10, v11
	v_mov_b32_e32 v11, v10
	s_delay_alu instid0(VALU_DEP_2) | instskip(NEXT) | instid1(SALU_CYCLE_1)
	s_or_b32 s3, s2, s3
	s_and_not1_b32 exec_lo, exec_lo, s3
	s_cbranch_execnz .LBB1_237
; %bb.238:                              ;   in Loop: Header=BB1_19 Depth=1
	s_or_b32 exec_lo, exec_lo, s3
	s_getpc_b64 s[2:3]
	s_add_u32 s2, s2, detector_scores_energy@rel32@lo+4
	s_addc_u32 s3, s3, detector_scores_energy@rel32@hi+12
	s_add_u32 s2, s8, s2
	s_addc_u32 s3, s9, s3
	v_add_co_u32 v3, s2, s2, v3
	s_delay_alu instid0(VALU_DEP_1) | instskip(SKIP_4) | instid1(VALU_DEP_1)
	v_add_co_ci_u32_e64 v4, s2, s3, v4, s2
	s_mov_b32 s3, 0
	global_load_b64 v[3:4], v[3:4], off
	s_waitcnt vmcnt(0)
	v_add_co_u32 v3, s2, v3, v6
	v_add_co_ci_u32_e64 v4, s2, v4, v7, s2
	global_load_b32 v7, v[3:4], off
.LBB1_239:                              ;   Parent Loop BB1_19 Depth=1
                                        ; =>  This Inner Loop Header: Depth=2
	s_waitcnt vmcnt(0)
	v_add_f32_e32 v6, v7, v24
	global_atomic_cmpswap_b32 v6, v[3:4], v[6:7], off glc
	s_waitcnt vmcnt(0)
	v_cmp_eq_u32_e64 s2, v6, v7
	v_mov_b32_e32 v7, v6
	s_delay_alu instid0(VALU_DEP_2) | instskip(NEXT) | instid1(SALU_CYCLE_1)
	s_or_b32 s3, s2, s3
	s_and_not1_b32 exec_lo, exec_lo, s3
	s_cbranch_execnz .LBB1_239
.LBB1_240:                              ;   in Loop: Header=BB1_19 Depth=1
	s_or_b32 exec_lo, exec_lo, s93
	v_add_nc_u32_e32 v14, -1, v13
	s_and_saveexec_b32 s4, s1
	s_cbranch_execz .LBB1_246
; %bb.241:                              ;   in Loop: Header=BB1_19 Depth=1
	v_cmp_gt_i32_e64 s1, s26, v2
	v_cmp_lt_i32_e64 s2, 0, v13
	v_cmp_ge_i32_e64 s3, s27, v13
	s_delay_alu instid0(VALU_DEP_2)
	s_and_b32 s1, s1, s2
	s_delay_alu instid0(VALU_DEP_1) | instid1(SALU_CYCLE_1)
	s_and_b32 s1, s1, s3
	s_delay_alu instid0(SALU_CYCLE_1)
	s_and_b32 exec_lo, exec_lo, s1
	s_cbranch_execz .LBB1_246
; %bb.242:                              ;   in Loop: Header=BB1_19 Depth=1
	v_lshlrev_b64 v[3:4], 3, v[0:1]
	s_getpc_b64 s[8:9]
	s_add_u32 s8, s8, detector_scores_count@rel32@lo+4
	s_addc_u32 s9, s9, detector_scores_count@rel32@hi+12
	s_lshl_b64 s[2:3], s[28:29], 5
	s_delay_alu instid0(SALU_CYCLE_1) | instskip(SKIP_2) | instid1(VALU_DEP_1)
	s_add_u32 s1, s2, s8
	s_addc_u32 s8, s3, s9
	v_add_co_u32 v6, s1, s1, v3
	v_add_co_ci_u32_e64 v7, s1, s8, v4, s1
	s_mov_b32 s8, 0
	global_load_b64 v[8:9], v[6:7], off
	v_mad_u64_u32 v[6:7], null, v14, s26, v[2:3]
	v_mov_b32_e32 v7, v40
	s_delay_alu instid0(VALU_DEP_1) | instskip(SKIP_1) | instid1(VALU_DEP_1)
	v_lshlrev_b64 v[6:7], 2, v[6:7]
	s_waitcnt vmcnt(0)
	v_add_co_u32 v8, s1, v8, v6
	s_delay_alu instid0(VALU_DEP_1)
	v_add_co_ci_u32_e64 v9, s1, v9, v7, s1
	global_load_b32 v11, v[8:9], off
.LBB1_243:                              ;   Parent Loop BB1_19 Depth=1
                                        ; =>  This Inner Loop Header: Depth=2
	s_waitcnt vmcnt(0)
	v_add_f32_e32 v10, v11, v25
	global_atomic_cmpswap_b32 v10, v[8:9], v[10:11], off glc
	s_waitcnt vmcnt(0)
	v_cmp_eq_u32_e64 s1, v10, v11
	v_mov_b32_e32 v11, v10
	s_delay_alu instid0(VALU_DEP_2) | instskip(NEXT) | instid1(SALU_CYCLE_1)
	s_or_b32 s8, s1, s8
	s_and_not1_b32 exec_lo, exec_lo, s8
	s_cbranch_execnz .LBB1_243
; %bb.244:                              ;   in Loop: Header=BB1_19 Depth=1
	s_or_b32 exec_lo, exec_lo, s8
	s_getpc_b64 s[8:9]
	s_add_u32 s8, s8, detector_scores_energy@rel32@lo+4
	s_addc_u32 s9, s9, detector_scores_energy@rel32@hi+12
	s_add_u32 s1, s2, s8
	s_addc_u32 s2, s3, s9
	v_add_co_u32 v3, s1, s1, v3
	s_delay_alu instid0(VALU_DEP_1) | instskip(SKIP_4) | instid1(VALU_DEP_1)
	v_add_co_ci_u32_e64 v4, s1, s2, v4, s1
	s_mov_b32 s2, 0
	global_load_b64 v[3:4], v[3:4], off
	s_waitcnt vmcnt(0)
	v_add_co_u32 v3, s1, v3, v6
	v_add_co_ci_u32_e64 v4, s1, v4, v7, s1
	global_load_b32 v7, v[3:4], off
.LBB1_245:                              ;   Parent Loop BB1_19 Depth=1
                                        ; =>  This Inner Loop Header: Depth=2
	s_waitcnt vmcnt(0)
	v_add_f32_e32 v6, v7, v24
	global_atomic_cmpswap_b32 v6, v[3:4], v[6:7], off glc
	s_waitcnt vmcnt(0)
	v_cmp_eq_u32_e64 s1, v6, v7
	v_mov_b32_e32 v7, v6
	s_delay_alu instid0(VALU_DEP_2) | instskip(NEXT) | instid1(SALU_CYCLE_1)
	s_or_b32 s2, s1, s2
	s_and_not1_b32 exec_lo, exec_lo, s2
	s_cbranch_execnz .LBB1_245
.LBB1_246:                              ;   in Loop: Header=BB1_19 Depth=1
	s_or_b32 exec_lo, exec_lo, s4
	s_mov_b32 s1, 0
                                        ; implicit-def: $vgpr3
	s_and_saveexec_b32 s3, vcc_lo
	s_cbranch_execz .LBB1_250
; %bb.247:                              ;   in Loop: Header=BB1_19 Depth=1
	v_cmp_ge_i32_e32 vcc_lo, s26, v2
	v_cmp_ge_i32_e64 s1, s27, v13
	v_cmp_lt_i32_e64 s2, 0, v13
                                        ; implicit-def: $vgpr3
	s_delay_alu instid0(VALU_DEP_2)
	s_and_b32 s1, vcc_lo, s1
	s_delay_alu instid0(VALU_DEP_1) | instid1(SALU_CYCLE_1)
	s_and_b32 s2, s1, s2
	s_mov_b32 s1, 0
	s_and_saveexec_b32 s4, s2
	s_delay_alu instid0(SALU_CYCLE_1)
	s_xor_b32 s2, exec_lo, s4
; %bb.248:                              ;   in Loop: Header=BB1_19 Depth=1
	s_mov_b32 s1, exec_lo
	v_mad_u64_u32 v[3:4], null, v14, s26, v[5:6]
; %bb.249:                              ;   in Loop: Header=BB1_19 Depth=1
	s_or_b32 exec_lo, exec_lo, s2
	s_delay_alu instid0(SALU_CYCLE_1)
	s_and_b32 s1, s1, exec_lo
.LBB1_250:                              ;   in Loop: Header=BB1_19 Depth=1
	s_or_b32 exec_lo, exec_lo, s3
	v_mov_b32_e32 v8, v24
	s_mov_b32 s2, 8
	s_and_b32 s4, s1, exec_lo
                                        ; implicit-def: $vgpr2
                                        ; implicit-def: $vgpr13
.LBB1_251:                              ;   in Loop: Header=BB1_19 Depth=1
	s_or_saveexec_b32 s8, s92
	v_mov_b32_e32 v138, s2
	s_xor_b32 exec_lo, exec_lo, s8
	s_cbranch_execz .LBB1_263
; %bb.252:                              ;   in Loop: Header=BB1_19 Depth=1
	v_mul_f32_e32 v25, 0.5, v25
	v_cmp_lt_i32_e32 vcc_lo, -1, v2
	s_delay_alu instid0(VALU_DEP_2)
	v_mul_f32_e32 v24, v25, v24
	s_and_saveexec_b32 s9, vcc_lo
	s_cbranch_execz .LBB1_258
; %bb.253:                              ;   in Loop: Header=BB1_19 Depth=1
	v_cmp_gt_i32_e64 s1, s26, v2
	v_cmp_lt_i32_e64 s2, -1, v13
	v_cmp_gt_i32_e64 s3, s27, v13
	s_delay_alu instid0(VALU_DEP_2)
	s_and_b32 s1, s1, s2
	s_delay_alu instid0(VALU_DEP_1) | instid1(SALU_CYCLE_1)
	s_and_b32 s1, s1, s3
	s_delay_alu instid0(SALU_CYCLE_1)
	s_and_b32 exec_lo, exec_lo, s1
	s_cbranch_execz .LBB1_258
; %bb.254:                              ;   in Loop: Header=BB1_19 Depth=1
	v_lshlrev_b64 v[3:4], 3, v[0:1]
	s_getpc_b64 s[92:93]
	s_add_u32 s92, s92, detector_scores_count@rel32@lo+4
	s_addc_u32 s93, s93, detector_scores_count@rel32@hi+12
	s_lshl_b64 s[2:3], s[28:29], 5
	s_delay_alu instid0(SALU_CYCLE_1) | instskip(SKIP_2) | instid1(VALU_DEP_1)
	s_add_u32 s1, s2, s92
	s_addc_u32 s92, s3, s93
	v_add_co_u32 v5, s1, s1, v3
	v_add_co_ci_u32_e64 v6, s1, s92, v4, s1
	s_mov_b32 s92, 0
	global_load_b64 v[7:8], v[5:6], off
	v_mad_u64_u32 v[5:6], null, s26, v13, v[2:3]
	v_mov_b32_e32 v6, v40
	s_delay_alu instid0(VALU_DEP_1) | instskip(SKIP_1) | instid1(VALU_DEP_1)
	v_lshlrev_b64 v[5:6], 2, v[5:6]
	s_waitcnt vmcnt(0)
	v_add_co_u32 v7, s1, v7, v5
	s_delay_alu instid0(VALU_DEP_1)
	v_add_co_ci_u32_e64 v8, s1, v8, v6, s1
	global_load_b32 v10, v[7:8], off
.LBB1_255:                              ;   Parent Loop BB1_19 Depth=1
                                        ; =>  This Inner Loop Header: Depth=2
	s_waitcnt vmcnt(0)
	v_add_f32_e32 v9, v10, v25
	global_atomic_cmpswap_b32 v9, v[7:8], v[9:10], off glc
	s_waitcnt vmcnt(0)
	v_cmp_eq_u32_e64 s1, v9, v10
	v_mov_b32_e32 v10, v9
	s_delay_alu instid0(VALU_DEP_2) | instskip(NEXT) | instid1(SALU_CYCLE_1)
	s_or_b32 s92, s1, s92
	s_and_not1_b32 exec_lo, exec_lo, s92
	s_cbranch_execnz .LBB1_255
; %bb.256:                              ;   in Loop: Header=BB1_19 Depth=1
	s_or_b32 exec_lo, exec_lo, s92
	s_getpc_b64 s[92:93]
	s_add_u32 s92, s92, detector_scores_energy@rel32@lo+4
	s_addc_u32 s93, s93, detector_scores_energy@rel32@hi+12
	s_add_u32 s1, s2, s92
	s_addc_u32 s2, s3, s93
	v_add_co_u32 v3, s1, s1, v3
	s_delay_alu instid0(VALU_DEP_1) | instskip(SKIP_4) | instid1(VALU_DEP_1)
	v_add_co_ci_u32_e64 v4, s1, s2, v4, s1
	s_mov_b32 s2, 0
	global_load_b64 v[3:4], v[3:4], off
	s_waitcnt vmcnt(0)
	v_add_co_u32 v3, s1, v3, v5
	v_add_co_ci_u32_e64 v4, s1, v4, v6, s1
	global_load_b32 v6, v[3:4], off
.LBB1_257:                              ;   Parent Loop BB1_19 Depth=1
                                        ; =>  This Inner Loop Header: Depth=2
	s_waitcnt vmcnt(0)
	v_add_f32_e32 v5, v6, v24
	global_atomic_cmpswap_b32 v5, v[3:4], v[5:6], off glc
	s_waitcnt vmcnt(0)
	v_cmp_eq_u32_e64 s1, v5, v6
	v_mov_b32_e32 v6, v5
	s_delay_alu instid0(VALU_DEP_2) | instskip(NEXT) | instid1(SALU_CYCLE_1)
	s_or_b32 s2, s1, s2
	s_and_not1_b32 exec_lo, exec_lo, s2
	s_cbranch_execnz .LBB1_257
.LBB1_258:                              ;   in Loop: Header=BB1_19 Depth=1
	s_or_b32 exec_lo, exec_lo, s9
	s_mov_b32 s1, s4
                                        ; implicit-def: $vgpr3
	s_and_saveexec_b32 s3, vcc_lo
	s_cbranch_execz .LBB1_262
; %bb.259:                              ;   in Loop: Header=BB1_19 Depth=1
	v_cmp_gt_i32_e32 vcc_lo, s26, v2
	v_cmp_lt_i32_e64 s1, 0, v13
	v_cmp_ge_i32_e64 s2, s27, v13
                                        ; implicit-def: $vgpr3
	s_delay_alu instid0(VALU_DEP_2)
	s_and_b32 s1, vcc_lo, s1
	s_delay_alu instid0(VALU_DEP_1) | instid1(SALU_CYCLE_1)
	s_and_b32 s2, s1, s2
	s_mov_b32 s1, s4
	s_and_saveexec_b32 s9, s2
	s_delay_alu instid0(SALU_CYCLE_1)
	s_xor_b32 s2, exec_lo, s9
; %bb.260:                              ;   in Loop: Header=BB1_19 Depth=1
	v_add_nc_u32_e32 v5, -1, v13
	s_or_b32 s1, s4, exec_lo
	s_delay_alu instid0(VALU_DEP_1)
	v_mad_u64_u32 v[3:4], null, v5, s26, v[2:3]
; %bb.261:                              ;   in Loop: Header=BB1_19 Depth=1
	s_or_b32 exec_lo, exec_lo, s2
	s_delay_alu instid0(SALU_CYCLE_1) | instskip(SKIP_1) | instid1(SALU_CYCLE_1)
	s_and_not1_b32 s2, s4, exec_lo
	s_and_b32 s1, s1, exec_lo
	s_or_b32 s1, s2, s1
.LBB1_262:                              ;   in Loop: Header=BB1_19 Depth=1
	s_or_b32 exec_lo, exec_lo, s3
	s_delay_alu instid0(SALU_CYCLE_1)
	s_and_not1_b32 s2, s4, exec_lo
	s_and_b32 s1, s1, exec_lo
	v_mov_b32_e32 v138, 8
	v_mov_b32_e32 v8, v24
	s_or_b32 s4, s2, s1
.LBB1_263:                              ;   in Loop: Header=BB1_19 Depth=1
	s_or_b32 exec_lo, exec_lo, s8
	s_delay_alu instid0(SALU_CYCLE_1)
	s_and_b32 s4, s4, exec_lo
                                        ; implicit-def: $vgpr4
                                        ; implicit-def: $vgpr2
                                        ; implicit-def: $vgpr13
	s_or_saveexec_b32 s8, s31
	v_mov_b32_e32 v9, v8
	s_xor_b32 exec_lo, exec_lo, s8
	s_cbranch_execz .LBB1_210
.LBB1_264:                              ;   in Loop: Header=BB1_19 Depth=1
	s_mov_b32 s9, s4
                                        ; implicit-def: $sgpr1
                                        ; implicit-def: $vgpr8
                                        ; implicit-def: $vgpr3
                                        ; implicit-def: $vgpr9
	s_mov_b32 s2, exec_lo
	v_cmpx_ne_u32_e32 1, v4
	s_xor_b32 s3, exec_lo, s2
	s_cbranch_execz .LBB1_270
; %bb.265:                              ;   in Loop: Header=BB1_19 Depth=1
	s_mov_b32 s1, s4
	s_mov_b32 s9, exec_lo
                                        ; implicit-def: $vgpr8
                                        ; implicit-def: $vgpr3
                                        ; implicit-def: $vgpr9
	v_cmpx_lt_i32_e32 -1, v2
	s_cbranch_execz .LBB1_269
; %bb.266:                              ;   in Loop: Header=BB1_19 Depth=1
	v_cmp_gt_i32_e32 vcc_lo, s26, v2
	v_cmp_lt_i32_e64 s1, -1, v13
	v_cmp_gt_i32_e64 s2, s27, v13
                                        ; implicit-def: $vgpr8
                                        ; implicit-def: $vgpr3
	s_delay_alu instid0(VALU_DEP_2)
	s_and_b32 s1, vcc_lo, s1
	s_delay_alu instid0(VALU_DEP_1) | instid1(SALU_CYCLE_1)
	s_and_b32 s31, s1, s2
	s_mov_b32 s1, s4
	s_and_saveexec_b32 s2, s31
; %bb.267:                              ;   in Loop: Header=BB1_19 Depth=1
	v_mad_u64_u32 v[3:4], null, s26, v13, v[2:3]
	v_mul_f32_e32 v8, v25, v24
	s_or_b32 s1, s4, exec_lo
; %bb.268:                              ;   in Loop: Header=BB1_19 Depth=1
	s_or_b32 exec_lo, exec_lo, s2
	v_mov_b32_e32 v9, v24
	s_and_not1_b32 s2, s4, exec_lo
	s_and_b32 s1, s1, exec_lo
	s_delay_alu instid0(SALU_CYCLE_1)
	s_or_b32 s1, s2, s1
.LBB1_269:                              ;   in Loop: Header=BB1_19 Depth=1
	s_or_b32 exec_lo, exec_lo, s9
	s_delay_alu instid0(SALU_CYCLE_1)
	s_and_not1_b32 s2, s4, exec_lo
	s_and_b32 s9, s1, exec_lo
	s_mov_b32 s1, 8
	s_or_b32 s9, s2, s9
                                        ; implicit-def: $vgpr2
                                        ; implicit-def: $vgpr13
.LBB1_270:                              ;   in Loop: Header=BB1_19 Depth=1
	s_or_saveexec_b32 s31, s3
	v_mov_b32_e32 v138, s1
	s_xor_b32 exec_lo, exec_lo, s31
	s_cbranch_execz .LBB1_282
; %bb.271:                              ;   in Loop: Header=BB1_19 Depth=1
	v_mul_f32_e32 v25, 0.5, v25
	s_mov_b32 s92, exec_lo
	s_delay_alu instid0(VALU_DEP_1)
	v_mul_f32_e32 v24, v25, v24
	v_cmpx_lt_i32_e32 -1, v2
	s_cbranch_execz .LBB1_277
; %bb.272:                              ;   in Loop: Header=BB1_19 Depth=1
	v_cmp_gt_i32_e32 vcc_lo, s26, v2
	v_cmp_lt_i32_e64 s1, -1, v13
	v_cmp_gt_i32_e64 s2, s27, v13
	s_delay_alu instid0(VALU_DEP_2)
	s_and_b32 s1, vcc_lo, s1
	s_delay_alu instid0(VALU_DEP_1) | instid1(SALU_CYCLE_1)
	s_and_b32 s1, s1, s2
	s_delay_alu instid0(SALU_CYCLE_1)
	s_and_b32 exec_lo, exec_lo, s1
	s_cbranch_execz .LBB1_277
; %bb.273:                              ;   in Loop: Header=BB1_19 Depth=1
	v_lshlrev_b64 v[3:4], 3, v[0:1]
	s_getpc_b64 s[94:95]
	s_add_u32 s94, s94, detector_scores_count@rel32@lo+4
	s_addc_u32 s95, s95, detector_scores_count@rel32@hi+12
	s_lshl_b64 s[2:3], s[28:29], 5
	s_delay_alu instid0(SALU_CYCLE_1)
	s_add_u32 s1, s2, s94
	s_addc_u32 s93, s3, s95
	v_add_co_u32 v5, vcc_lo, s1, v3
	v_add_co_ci_u32_e32 v6, vcc_lo, s93, v4, vcc_lo
	s_mov_b32 s1, 0
	global_load_b64 v[7:8], v[5:6], off
	v_mad_u64_u32 v[5:6], null, s26, v13, v[2:3]
	v_mov_b32_e32 v6, v40
	s_delay_alu instid0(VALU_DEP_1) | instskip(SKIP_1) | instid1(VALU_DEP_1)
	v_lshlrev_b64 v[5:6], 2, v[5:6]
	s_waitcnt vmcnt(0)
	v_add_co_u32 v7, vcc_lo, v7, v5
	s_delay_alu instid0(VALU_DEP_2)
	v_add_co_ci_u32_e32 v8, vcc_lo, v8, v6, vcc_lo
	global_load_b32 v10, v[7:8], off
.LBB1_274:                              ;   Parent Loop BB1_19 Depth=1
                                        ; =>  This Inner Loop Header: Depth=2
	s_waitcnt vmcnt(0)
	v_add_f32_e32 v9, v10, v25
	global_atomic_cmpswap_b32 v9, v[7:8], v[9:10], off glc
	s_waitcnt vmcnt(0)
	v_cmp_eq_u32_e32 vcc_lo, v9, v10
	v_mov_b32_e32 v10, v9
	s_or_b32 s1, vcc_lo, s1
	s_delay_alu instid0(SALU_CYCLE_1)
	s_and_not1_b32 exec_lo, exec_lo, s1
	s_cbranch_execnz .LBB1_274
; %bb.275:                              ;   in Loop: Header=BB1_19 Depth=1
	s_or_b32 exec_lo, exec_lo, s1
	s_getpc_b64 s[94:95]
	s_add_u32 s94, s94, detector_scores_energy@rel32@lo+4
	s_addc_u32 s95, s95, detector_scores_energy@rel32@hi+12
	s_add_u32 s1, s2, s94
	s_addc_u32 s2, s3, s95
	v_add_co_u32 v3, vcc_lo, s1, v3
	v_add_co_ci_u32_e32 v4, vcc_lo, s2, v4, vcc_lo
	s_mov_b32 s1, 0
	global_load_b64 v[3:4], v[3:4], off
	s_waitcnt vmcnt(0)
	v_add_co_u32 v3, vcc_lo, v3, v5
	v_add_co_ci_u32_e32 v4, vcc_lo, v4, v6, vcc_lo
	global_load_b32 v6, v[3:4], off
.LBB1_276:                              ;   Parent Loop BB1_19 Depth=1
                                        ; =>  This Inner Loop Header: Depth=2
	s_waitcnt vmcnt(0)
	v_add_f32_e32 v5, v6, v24
	global_atomic_cmpswap_b32 v5, v[3:4], v[5:6], off glc
	s_waitcnt vmcnt(0)
	v_cmp_eq_u32_e32 vcc_lo, v5, v6
	v_mov_b32_e32 v6, v5
	s_or_b32 s1, vcc_lo, s1
	s_delay_alu instid0(SALU_CYCLE_1)
	s_and_not1_b32 exec_lo, exec_lo, s1
	s_cbranch_execnz .LBB1_276
.LBB1_277:                              ;   in Loop: Header=BB1_19 Depth=1
	s_or_b32 exec_lo, exec_lo, s92
	s_mov_b32 s1, s9
	s_mov_b32 s3, exec_lo
                                        ; implicit-def: $vgpr3
                                        ; implicit-def: $vgpr8
	v_cmpx_lt_i32_e32 0, v2
	s_cbranch_execz .LBB1_281
; %bb.278:                              ;   in Loop: Header=BB1_19 Depth=1
	v_cmp_lt_i32_e32 vcc_lo, -1, v13
	v_cmp_gt_i32_e64 s1, s27, v13
	v_cmp_ge_i32_e64 s2, s26, v2
                                        ; implicit-def: $vgpr3
	s_delay_alu instid0(VALU_DEP_2)
	s_and_b32 s1, vcc_lo, s1
	s_delay_alu instid0(VALU_DEP_1) | instid1(SALU_CYCLE_1)
	s_and_b32 s92, s1, s2
	s_mov_b32 s1, s9
	s_and_saveexec_b32 s2, s92
; %bb.279:                              ;   in Loop: Header=BB1_19 Depth=1
	v_mul_lo_u32 v3, s26, v13
	s_or_b32 s1, s9, exec_lo
	s_delay_alu instid0(VALU_DEP_1)
	v_add3_u32 v3, v2, v3, -1
; %bb.280:                              ;   in Loop: Header=BB1_19 Depth=1
	s_or_b32 exec_lo, exec_lo, s2
	v_mov_b32_e32 v8, v24
	s_and_not1_b32 s2, s9, exec_lo
	s_and_b32 s1, s1, exec_lo
	s_delay_alu instid0(SALU_CYCLE_1)
	s_or_b32 s1, s2, s1
.LBB1_281:                              ;   in Loop: Header=BB1_19 Depth=1
	s_or_b32 exec_lo, exec_lo, s3
	v_dual_mov_b32 v138, 8 :: v_dual_mov_b32 v9, v8
	s_and_not1_b32 s2, s9, exec_lo
	s_and_b32 s1, s1, exec_lo
	s_delay_alu instid0(SALU_CYCLE_1)
	s_or_b32 s9, s2, s1
.LBB1_282:                              ;   in Loop: Header=BB1_19 Depth=1
	s_or_b32 exec_lo, exec_lo, s31
	s_delay_alu instid0(SALU_CYCLE_1) | instskip(SKIP_1) | instid1(SALU_CYCLE_1)
	s_and_not1_b32 s1, s4, exec_lo
	s_and_b32 s2, s9, exec_lo
	s_or_b32 s4, s1, s2
	s_or_b32 exec_lo, exec_lo, s8
	s_and_saveexec_b32 s1, s4
	s_cbranch_execz .LBB1_288
.LBB1_283:                              ;   in Loop: Header=BB1_19 Depth=1
	v_lshlrev_b64 v[0:1], 3, v[0:1]
	s_getpc_b64 s[8:9]
	s_add_u32 s8, s8, detector_scores_count@rel32@lo+4
	s_addc_u32 s9, s9, detector_scores_count@rel32@hi+12
	s_lshl_b64 s[2:3], s[28:29], 5
	s_delay_alu instid0(SALU_CYCLE_1)
	s_add_u32 s4, s2, s8
	s_addc_u32 s8, s3, s9
	v_add_co_u32 v4, vcc_lo, s4, v0
	v_add_co_ci_u32_e32 v5, vcc_lo, s8, v1, vcc_lo
	s_mov_b32 s4, 0
	global_load_b64 v[5:6], v[4:5], off
	v_mov_b32_e32 v4, v40
	s_delay_alu instid0(VALU_DEP_1) | instskip(SKIP_1) | instid1(VALU_DEP_1)
	v_lshlrev_b64 v[2:3], 2, v[3:4]
	s_waitcnt vmcnt(0)
	v_add_co_u32 v4, vcc_lo, v5, v2
	s_delay_alu instid0(VALU_DEP_2)
	v_add_co_ci_u32_e32 v5, vcc_lo, v6, v3, vcc_lo
	global_load_b32 v7, v[4:5], off
.LBB1_284:                              ;   Parent Loop BB1_19 Depth=1
                                        ; =>  This Inner Loop Header: Depth=2
	s_waitcnt vmcnt(0)
	v_add_f32_e32 v6, v7, v25
	global_atomic_cmpswap_b32 v6, v[4:5], v[6:7], off glc
	s_waitcnt vmcnt(0)
	v_cmp_eq_u32_e32 vcc_lo, v6, v7
	v_mov_b32_e32 v7, v6
	s_or_b32 s4, vcc_lo, s4
	s_delay_alu instid0(SALU_CYCLE_1)
	s_and_not1_b32 exec_lo, exec_lo, s4
	s_cbranch_execnz .LBB1_284
; %bb.285:                              ;   in Loop: Header=BB1_19 Depth=1
	s_or_b32 exec_lo, exec_lo, s4
	s_getpc_b64 s[8:9]
	s_add_u32 s8, s8, detector_scores_energy@rel32@lo+4
	s_addc_u32 s9, s9, detector_scores_energy@rel32@hi+12
	s_add_u32 s2, s2, s8
	s_addc_u32 s3, s3, s9
	v_add_co_u32 v0, vcc_lo, s2, v0
	v_add_co_ci_u32_e32 v1, vcc_lo, s3, v1, vcc_lo
	s_mov_b32 s2, 0
	global_load_b64 v[0:1], v[0:1], off
	s_waitcnt vmcnt(0)
	v_add_co_u32 v0, vcc_lo, v0, v2
	v_add_co_ci_u32_e32 v1, vcc_lo, v1, v3, vcc_lo
	global_load_b32 v3, v[0:1], off
.LBB1_286:                              ;   Parent Loop BB1_19 Depth=1
                                        ; =>  This Inner Loop Header: Depth=2
	s_waitcnt vmcnt(0)
	v_add_f32_e32 v2, v3, v8
	global_atomic_cmpswap_b32 v2, v[0:1], v[2:3], off glc
	s_waitcnt vmcnt(0)
	v_cmp_eq_u32_e32 vcc_lo, v2, v3
	v_mov_b32_e32 v3, v2
	s_or_b32 s2, vcc_lo, s2
	s_delay_alu instid0(SALU_CYCLE_1)
	s_and_not1_b32 exec_lo, exec_lo, s2
	s_cbranch_execnz .LBB1_286
; %bb.287:                              ;   in Loop: Header=BB1_19 Depth=1
	s_or_b32 exec_lo, exec_lo, s2
	v_mov_b32_e32 v138, 8
	v_mov_b32_e32 v24, v9
.LBB1_288:                              ;   in Loop: Header=BB1_19 Depth=1
	s_or_b32 exec_lo, exec_lo, s1
.LBB1_289:                              ;   in Loop: Header=BB1_19 Depth=1
	s_delay_alu instid0(SALU_CYCLE_1)
	s_or_b32 exec_lo, exec_lo, s30
.LBB1_290:                              ;   in Loop: Header=BB1_19 Depth=1
	s_delay_alu instid0(SALU_CYCLE_1)
	s_or_b32 exec_lo, exec_lo, s11
.LBB1_291:                              ;   in Loop: Header=BB1_19 Depth=1
	s_delay_alu instid0(SALU_CYCLE_1) | instskip(SKIP_1) | instid1(VALU_DEP_1)
	s_or_b32 exec_lo, exec_lo, s10
	v_cndmask_b32_e64 v0, 0, 1, s0
	v_cmp_ne_u32_e32 vcc_lo, 0, v0
	s_and_saveexec_b32 s0, s5
	s_cbranch_execz .LBB1_293
; %bb.292:                              ;   in Loop: Header=BB1_19 Depth=1
	flat_load_b32 v0, v[65:66] glc dlc
	s_waitcnt vmcnt(0)
	s_bcnt1_i32_b32 s1, vcc_lo
	s_waitcnt lgkmcnt(0)
	v_add_nc_u32_e32 v0, s1, v0
	flat_store_b32 v[65:66], v0 dlc
	s_waitcnt_vscnt null, 0x0
	flat_load_b32 v0, v[59:60] glc dlc
	s_waitcnt vmcnt(0) lgkmcnt(0)
	v_add_nc_u32_e32 v0, 1, v0
	flat_store_b32 v[59:60], v0 dlc
	s_waitcnt_vscnt null, 0x0
.LBB1_293:                              ;   in Loop: Header=BB1_19 Depth=1
	s_or_b32 exec_lo, exec_lo, s0
.LBB1_294:                              ;   in Loop: Header=BB1_19 Depth=1
	v_or_b32_e32 v33, v12, v23
	s_delay_alu instid0(VALU_DEP_1) | instskip(SKIP_1) | instid1(VALU_DEP_1)
	v_mov_b32_e32 v0, v33
	;;#ASMSTART
	;;#ASMEND
	v_cmp_ne_u32_e32 vcc_lo, 0, v0
	s_cmp_eq_u32 vcc_lo, exec_lo
	s_cbranch_scc1 .LBB1_394
; %bb.295:                              ;   in Loop: Header=BB1_19 Depth=1
	v_and_b32_e32 v0, 0xff, v138
	s_delay_alu instid0(VALU_DEP_1) | instskip(NEXT) | instid1(VALU_DEP_1)
	v_cmp_eq_u16_e64 s10, 4, v0
	v_cndmask_b32_e64 v23, 0, 1, s10
	s_delay_alu instid0(VALU_DEP_1) | instskip(SKIP_1) | instid1(VALU_DEP_1)
	v_mov_b32_e32 v0, v23
	;;#ASMSTART
	;;#ASMEND
	v_cmp_ne_u32_e32 vcc_lo, 0, v0
	s_cbranch_vccz .LBB1_333
; %bb.296:                              ;   in Loop: Header=BB1_19 Depth=1
	v_div_scale_f32 v0, null, 0x3f02d11e, 0x3f02d11e, v24
	v_div_scale_f32 v3, vcc_lo, v24, 0x3f02d11e, v24
	v_mov_b32_e32 v156, 0
	s_delay_alu instid0(VALU_DEP_3) | instskip(SKIP_4) | instid1(VALU_DEP_1)
	v_rcp_f32_e32 v1, v0
	s_xor_b32 s92, s10, -1
	v_mov_b32_e32 v157, 0
	s_waitcnt_depctr 0xfff
	v_fma_f32 v2, -v0, v1, 1.0
	v_fmac_f32_e32 v1, v2, v1
	s_delay_alu instid0(VALU_DEP_1) | instskip(NEXT) | instid1(VALU_DEP_1)
	v_mul_f32_e32 v2, v3, v1
	v_fma_f32 v4, -v0, v2, v3
	s_delay_alu instid0(VALU_DEP_1) | instskip(NEXT) | instid1(VALU_DEP_1)
	v_fmac_f32_e32 v2, v4, v1
	v_fma_f32 v0, -v0, v2, v3
	s_delay_alu instid0(VALU_DEP_1) | instskip(NEXT) | instid1(VALU_DEP_1)
	v_div_fmas_f32 v0, v0, v1, v2
	v_div_fixup_f32 v37, v0, 0x3f02d11e, v24
	s_delay_alu instid0(VALU_DEP_1) | instskip(SKIP_1) | instid1(VALU_DEP_2)
	v_fma_f32 v0, v37, 2.0, 1.0
	v_cmp_nlt_f32_e64 s11, 2.0, v37
	v_div_scale_f32 v1, null, v0, v0, 1.0
	v_cmp_gt_f32_e64 s0, 0x800000, v0
	v_div_scale_f32 v5, vcc_lo, 1.0, v0, 1.0
	s_delay_alu instid0(VALU_DEP_3) | instskip(SKIP_1) | instid1(VALU_DEP_3)
	v_rcp_f32_e32 v2, v1
	v_mul_f32_e32 v152, v0, v0
	v_cndmask_b32_e64 v3, 1.0, 0x4f800000, s0
	s_delay_alu instid0(VALU_DEP_1) | instskip(SKIP_3) | instid1(VALU_DEP_1)
	v_mul_f32_e32 v3, v0, v3
	s_waitcnt_depctr 0xfff
	v_fma_f32 v4, -v1, v2, 1.0
	v_log_f32_e32 v3, v3
	v_fmac_f32_e32 v2, v4, v2
	s_delay_alu instid0(VALU_DEP_1) | instskip(NEXT) | instid1(VALU_DEP_1)
	v_mul_f32_e32 v4, v5, v2
	v_fma_f32 v7, -v1, v4, v5
	s_delay_alu instid0(VALU_DEP_1) | instskip(NEXT) | instid1(VALU_DEP_1)
	v_fmac_f32_e32 v4, v7, v2
	v_fma_f32 v1, -v1, v4, v5
	v_add_f32_e32 v5, 1.0, v0
	s_delay_alu instid0(VALU_DEP_2) | instskip(SKIP_1) | instid1(TRANS32_DEP_1)
	v_div_fmas_f32 v1, v1, v2, v4
	v_cndmask_b32_e64 v2, 0, 0x41b17218, s0
	v_mul_f32_e32 v6, 0x3f317217, v3
	v_cmp_gt_f32_e64 vcc_lo, 0x7f800000, |v3|
	v_mul_f32_e32 v4, v37, v5
	v_div_fixup_f32 v38, v1, v0, 1.0
	v_mov_b32_e32 v36, 0
	v_fma_f32 v8, 0x3f317217, v3, -v6
	s_delay_alu instid0(VALU_DEP_3) | instskip(NEXT) | instid1(VALU_DEP_2)
	v_dual_mul_f32 v1, v38, v4 :: v_dual_add_f32 v154, v0, v38
	v_dual_fmac_f32 v8, 0x3377d1cf, v3 :: v_dual_sub_f32 v153, 1.0, v38
	s_delay_alu instid0(VALU_DEP_1) | instskip(NEXT) | instid1(VALU_DEP_1)
	v_add_f32_e32 v6, v6, v8
	v_cndmask_b32_e32 v3, v3, v6, vcc_lo
	s_delay_alu instid0(VALU_DEP_1) | instskip(NEXT) | instid1(VALU_DEP_1)
	v_sub_f32_e32 v137, v3, v2
	v_fma_f32 v155, v38, v1, v137
	s_branch .LBB1_300
.LBB1_297:                              ;   in Loop: Header=BB1_300 Depth=2
	s_or_b32 exec_lo, exec_lo, s0
	s_delay_alu instid0(VALU_DEP_1) | instskip(SKIP_2) | instid1(VALU_DEP_2)
	v_mul_f32_e32 v36, v38, v1
	v_fma_f32 v1, -v38, v1, 1.0
	s_and_not1_b32 s0, s2, exec_lo
	v_mul_f32_e32 v2, v37, v36
	s_delay_alu instid0(VALU_DEP_1) | instskip(SKIP_1) | instid1(VALU_DEP_2)
	v_div_scale_f32 v3, null, v2, v2, v1
	v_div_scale_f32 v6, vcc_lo, v1, v2, v1
	v_rcp_f32_e32 v4, v3
	s_waitcnt_depctr 0xfff
	v_fma_f32 v5, -v3, v4, 1.0
	s_delay_alu instid0(VALU_DEP_1) | instskip(NEXT) | instid1(VALU_DEP_1)
	v_fmac_f32_e32 v4, v5, v4
	v_mul_f32_e32 v5, v6, v4
	s_delay_alu instid0(VALU_DEP_1) | instskip(NEXT) | instid1(VALU_DEP_1)
	v_fma_f32 v7, -v3, v5, v6
	v_fmac_f32_e32 v5, v7, v4
	s_delay_alu instid0(VALU_DEP_1) | instskip(NEXT) | instid1(VALU_DEP_1)
	v_fma_f32 v3, -v3, v5, v6
	v_div_fmas_f32 v3, v3, v4, v5
	s_delay_alu instid0(VALU_DEP_1) | instskip(SKIP_2) | instid1(VALU_DEP_1)
	v_div_fixup_f32 v156, v3, v2, v1
	v_fma_f32 v2, v36, v36, 1.0
	s_waitcnt lgkmcnt(0)
	v_dual_sub_f32 v1, 2.0, v156 :: v_dual_mul_f32 v0, v0, v2
	s_delay_alu instid0(VALU_DEP_1) | instskip(NEXT) | instid1(VALU_DEP_1)
	v_mul_f32_e32 v1, v156, v1
	v_max_f32_e32 v157, 0, v1
	s_delay_alu instid0(VALU_DEP_1) | instskip(NEXT) | instid1(VALU_DEP_1)
	v_fma_f32 v1, -v36, v157, v2
	v_cmp_lt_f32_e32 vcc_lo, v0, v1
	s_and_b32 s2, vcc_lo, exec_lo
	s_delay_alu instid0(SALU_CYCLE_1)
	s_or_b32 s2, s0, s2
.LBB1_298:                              ;   in Loop: Header=BB1_300 Depth=2
	s_or_b32 exec_lo, exec_lo, s3
	s_delay_alu instid0(SALU_CYCLE_1)
	s_or_not1_b32 s92, s2, exec_lo
.LBB1_299:                              ;   in Loop: Header=BB1_300 Depth=2
	s_or_b32 exec_lo, exec_lo, s1
	v_cndmask_b32_e64 v0, 0, 1, s92
	;;#ASMSTART
	;;#ASMEND
	s_delay_alu instid0(VALU_DEP_1)
	v_cmp_ne_u32_e32 vcc_lo, 0, v0
	s_cmp_lg_u32 vcc_lo, exec_lo
	s_cbranch_scc0 .LBB1_320
.LBB1_300:                              ;   Parent Loop BB1_19 Depth=1
                                        ; =>  This Inner Loop Header: Depth=2
	flat_load_u8 v0, v[49:50] glc dlc
	s_waitcnt vmcnt(0) lgkmcnt(0)
	v_cmp_lt_u32_e32 vcc_lo, 1, v0
	v_add_nc_u32_e32 v0, 1, v0
	s_and_saveexec_b32 s93, vcc_lo
	s_cbranch_execz .LBB1_302
; %bb.301:                              ;   in Loop: Header=BB1_300 Depth=2
	s_add_u32 s8, s6, 8
	s_addc_u32 s9, s7, 0
	s_getpc_b64 s[0:1]
	s_add_u32 s0, s0, _Z17MT_generate_arrayv@rel32@lo+4
	s_addc_u32 s1, s1, _Z17MT_generate_arrayv@rel32@hi+12
	s_delay_alu instid0(SALU_CYCLE_1)
	s_swappc_b64 s[30:31], s[0:1]
	v_mov_b32_e32 v0, 0
.LBB1_302:                              ;   in Loop: Header=BB1_300 Depth=2
	s_or_b32 exec_lo, exec_lo, s93
	s_and_saveexec_b32 s0, s5
	s_cbranch_execz .LBB1_304
; %bb.303:                              ;   in Loop: Header=BB1_300 Depth=2
	flat_store_b8 v[49:50], v0 dlc
	s_waitcnt_vscnt null, 0x0
.LBB1_304:                              ;   in Loop: Header=BB1_300 Depth=2
	s_or_b32 exec_lo, exec_lo, s0
	v_lshl_or_b32 v0, v0, 7, v142
	s_delay_alu instid0(VALU_DEP_1)
	v_mad_u32_u24 v0, 0x180, v30, v0
	ds_load_b32 v159, v0 offset:6464
	flat_load_u8 v0, v[49:50] glc dlc
	s_waitcnt vmcnt(0) lgkmcnt(0)
	v_cmp_lt_u32_e32 vcc_lo, 1, v0
	v_add_nc_u32_e32 v0, 1, v0
	s_and_saveexec_b32 s93, vcc_lo
	s_cbranch_execz .LBB1_306
; %bb.305:                              ;   in Loop: Header=BB1_300 Depth=2
	s_add_u32 s8, s6, 8
	s_addc_u32 s9, s7, 0
	s_getpc_b64 s[0:1]
	s_add_u32 s0, s0, _Z17MT_generate_arrayv@rel32@lo+4
	s_addc_u32 s1, s1, _Z17MT_generate_arrayv@rel32@hi+12
	s_delay_alu instid0(SALU_CYCLE_1)
	s_swappc_b64 s[30:31], s[0:1]
	v_mov_b32_e32 v0, 0
.LBB1_306:                              ;   in Loop: Header=BB1_300 Depth=2
	s_or_b32 exec_lo, exec_lo, s93
	s_and_saveexec_b32 s0, s5
	s_cbranch_execz .LBB1_308
; %bb.307:                              ;   in Loop: Header=BB1_300 Depth=2
	flat_store_b8 v[49:50], v0 dlc
	s_waitcnt_vscnt null, 0x0
.LBB1_308:                              ;   in Loop: Header=BB1_300 Depth=2
	s_or_b32 exec_lo, exec_lo, s0
	v_lshl_or_b32 v0, v0, 7, v142
	s_delay_alu instid0(VALU_DEP_1)
	v_mad_u32_u24 v0, 0x180, v30, v0
	ds_load_b32 v158, v0 offset:6464
	flat_load_u8 v0, v[49:50] glc dlc
	s_waitcnt vmcnt(0) lgkmcnt(0)
	v_cmp_lt_u32_e32 vcc_lo, 1, v0
	v_add_nc_u32_e32 v0, 1, v0
	s_and_saveexec_b32 s93, vcc_lo
	s_cbranch_execz .LBB1_310
; %bb.309:                              ;   in Loop: Header=BB1_300 Depth=2
	s_add_u32 s8, s6, 8
	s_addc_u32 s9, s7, 0
	s_getpc_b64 s[0:1]
	s_add_u32 s0, s0, _Z17MT_generate_arrayv@rel32@lo+4
	s_addc_u32 s1, s1, _Z17MT_generate_arrayv@rel32@hi+12
	s_delay_alu instid0(SALU_CYCLE_1)
	s_swappc_b64 s[30:31], s[0:1]
	v_mov_b32_e32 v0, 0
.LBB1_310:                              ;   in Loop: Header=BB1_300 Depth=2
	s_or_b32 exec_lo, exec_lo, s93
	s_and_saveexec_b32 s0, s5
	s_cbranch_execz .LBB1_312
; %bb.311:                              ;   in Loop: Header=BB1_300 Depth=2
	flat_store_b8 v[49:50], v0 dlc
	s_waitcnt_vscnt null, 0x0
.LBB1_312:                              ;   in Loop: Header=BB1_300 Depth=2
	s_or_b32 exec_lo, exec_lo, s0
	s_xor_b32 s0, s92, -1
	s_mov_b32 s92, -1
	s_and_saveexec_b32 s1, s0
	s_cbranch_execz .LBB1_299
; %bb.313:                              ;   in Loop: Header=BB1_300 Depth=2
                                        ; implicit-def: $sgpr2
                                        ; implicit-def: $vgpr157
                                        ; implicit-def: $vgpr156
                                        ; implicit-def: $vgpr36
	s_and_saveexec_b32 s0, s11
	s_delay_alu instid0(SALU_CYCLE_1)
	s_xor_b32 s0, exec_lo, s0
	s_cbranch_execz .LBB1_315
; %bb.314:                              ;   in Loop: Header=BB1_300 Depth=2
	v_fma_f32 v36, v153, v159, v38
                                        ; implicit-def: $vgpr159
	s_delay_alu instid0(VALU_DEP_1) | instskip(SKIP_1) | instid1(VALU_DEP_1)
	v_sub_f32_e32 v0, 1.0, v36
	v_mul_f32_e32 v1, v37, v36
	v_div_scale_f32 v2, null, v1, v1, v0
	s_delay_alu instid0(VALU_DEP_1) | instskip(SKIP_2) | instid1(VALU_DEP_1)
	v_rcp_f32_e32 v3, v2
	s_waitcnt_depctr 0xfff
	v_fma_f32 v4, -v2, v3, 1.0
	v_fmac_f32_e32 v3, v4, v3
	v_div_scale_f32 v5, vcc_lo, v0, v1, v0
	s_delay_alu instid0(VALU_DEP_1) | instskip(NEXT) | instid1(VALU_DEP_1)
	v_mul_f32_e32 v4, v5, v3
	v_fma_f32 v6, -v2, v4, v5
	s_delay_alu instid0(VALU_DEP_1) | instskip(NEXT) | instid1(VALU_DEP_1)
	v_fmac_f32_e32 v4, v6, v3
	v_fma_f32 v2, -v2, v4, v5
	s_delay_alu instid0(VALU_DEP_1) | instskip(NEXT) | instid1(VALU_DEP_1)
	v_div_fmas_f32 v2, v2, v3, v4
	v_div_fixup_f32 v156, v2, v1, v0
	v_fma_f32 v1, v36, v36, 1.0
	s_delay_alu instid0(VALU_DEP_2) | instskip(NEXT) | instid1(VALU_DEP_1)
	v_sub_f32_e32 v0, 2.0, v156
	v_mul_f32_e32 v0, v156, v0
	s_delay_alu instid0(VALU_DEP_1) | instskip(NEXT) | instid1(VALU_DEP_1)
	v_dual_max_f32 v157, 0, v0 :: v_dual_mul_f32 v0, v36, v158
                                        ; implicit-def: $vgpr158
	v_fma_f32 v1, -v36, v157, v1
	s_delay_alu instid0(VALU_DEP_2) | instskip(NEXT) | instid1(VALU_DEP_1)
	v_mul_f32_e32 v0, v154, v0
	v_cmp_lt_f32_e32 vcc_lo, v0, v1
                                        ; implicit-def: $vgpr0
	s_and_b32 s2, vcc_lo, exec_lo
.LBB1_315:                              ;   in Loop: Header=BB1_300 Depth=2
	s_and_not1_saveexec_b32 s3, s0
	s_cbranch_execz .LBB1_298
; %bb.316:                              ;   in Loop: Header=BB1_300 Depth=2
	v_lshl_or_b32 v0, v0, 7, v142
	v_mul_f32_e32 v1, v155, v159
	s_delay_alu instid0(VALU_DEP_2) | instskip(NEXT) | instid1(VALU_DEP_2)
	v_mad_u32_u24 v0, 0x180, v30, v0
	v_cmp_nlt_f32_e32 vcc_lo, v1, v137
                                        ; implicit-def: $vgpr1
	ds_load_b32 v0, v0 offset:6464
	s_and_saveexec_b32 s0, vcc_lo
	s_delay_alu instid0(SALU_CYCLE_1)
	s_xor_b32 s4, exec_lo, s0
	s_cbranch_execz .LBB1_318
; %bb.317:                              ;   in Loop: Header=BB1_300 Depth=2
	v_fma_f32 v1, v152, v158, 1.0
	s_delay_alu instid0(VALU_DEP_1) | instskip(NEXT) | instid1(VALU_DEP_1)
	v_sub_f32_e32 v1, v1, v158
                                        ; implicit-def: $vgpr158
	v_mul_f32_e32 v2, 0x4f800000, v1
	v_cmp_gt_f32_e32 vcc_lo, 0xf800000, v1
	s_delay_alu instid0(VALU_DEP_2) | instskip(NEXT) | instid1(VALU_DEP_1)
	v_cndmask_b32_e32 v1, v1, v2, vcc_lo
	v_sqrt_f32_e32 v2, v1
	s_waitcnt_depctr 0xfff
	v_add_nc_u32_e32 v3, -1, v2
	v_add_nc_u32_e32 v4, 1, v2
	s_delay_alu instid0(VALU_DEP_2) | instskip(NEXT) | instid1(VALU_DEP_2)
	v_fma_f32 v5, -v3, v2, v1
	v_fma_f32 v6, -v4, v2, v1
	s_delay_alu instid0(VALU_DEP_2) | instskip(NEXT) | instid1(VALU_DEP_1)
	v_cmp_ge_f32_e64 s0, 0, v5
	v_cndmask_b32_e64 v2, v2, v3, s0
	s_delay_alu instid0(VALU_DEP_3) | instskip(NEXT) | instid1(VALU_DEP_1)
	v_cmp_lt_f32_e64 s0, 0, v6
	v_cndmask_b32_e64 v2, v2, v4, s0
	s_delay_alu instid0(VALU_DEP_1) | instskip(NEXT) | instid1(VALU_DEP_1)
	v_mul_f32_e32 v3, 0x37800000, v2
	v_cndmask_b32_e32 v2, v2, v3, vcc_lo
	v_cmp_class_f32_e64 vcc_lo, v1, 0x260
	s_delay_alu instid0(VALU_DEP_2)
	v_cndmask_b32_e32 v1, v2, v1, vcc_lo
.LBB1_318:                              ;   in Loop: Header=BB1_300 Depth=2
	s_and_not1_saveexec_b32 s0, s4
	s_cbranch_execz .LBB1_297
; %bb.319:                              ;   in Loop: Header=BB1_300 Depth=2
	v_mul_f32_e32 v1, v137, v158
	s_delay_alu instid0(VALU_DEP_1) | instskip(NEXT) | instid1(VALU_DEP_1)
	v_mul_f32_e32 v2, 0x3fb8aa3b, v1
	v_fma_f32 v3, 0x3fb8aa3b, v1, -v2
	v_rndne_f32_e32 v4, v2
	s_delay_alu instid0(VALU_DEP_1) | instskip(SKIP_1) | instid1(VALU_DEP_4)
	v_sub_f32_e32 v2, v2, v4
	v_cmp_ngt_f32_e32 vcc_lo, 0xc2ce8ed0, v1
	v_fmac_f32_e32 v3, 0x32a5705f, v1
	s_delay_alu instid0(VALU_DEP_1) | instskip(SKIP_1) | instid1(VALU_DEP_2)
	v_add_f32_e32 v2, v2, v3
	v_cvt_i32_f32_e32 v3, v4
	v_exp_f32_e32 v2, v2
	s_waitcnt_depctr 0xfff
	v_ldexp_f32 v2, v2, v3
	s_delay_alu instid0(VALU_DEP_1) | instskip(SKIP_1) | instid1(VALU_DEP_2)
	v_cndmask_b32_e32 v2, 0, v2, vcc_lo
	v_cmp_nlt_f32_e32 vcc_lo, 0x42b17218, v1
	v_cndmask_b32_e32 v1, 0x7f800000, v2, vcc_lo
	s_branch .LBB1_297
.LBB1_320:                              ;   in Loop: Header=BB1_19 Depth=1
	flat_load_u8 v0, v[49:50] glc dlc
	s_waitcnt vmcnt(0) lgkmcnt(0)
	v_cmp_lt_u32_e32 vcc_lo, 1, v0
	v_add_nc_u32_e32 v0, 1, v0
	s_and_saveexec_b32 s11, vcc_lo
	s_cbranch_execnz .LBB1_323
; %bb.321:                              ;   in Loop: Header=BB1_19 Depth=1
	s_or_b32 exec_lo, exec_lo, s11
	s_and_saveexec_b32 s0, s5
	s_cbranch_execnz .LBB1_324
.LBB1_322:                              ;   in Loop: Header=BB1_19 Depth=1
	s_or_b32 exec_lo, exec_lo, s0
	s_and_saveexec_b32 s1, s10
	s_cbranch_execnz .LBB1_325
	s_branch .LBB1_330
.LBB1_323:                              ;   in Loop: Header=BB1_19 Depth=1
	s_add_u32 s8, s6, 8
	s_addc_u32 s9, s7, 0
	s_getpc_b64 s[0:1]
	s_add_u32 s0, s0, _Z17MT_generate_arrayv@rel32@lo+4
	s_addc_u32 s1, s1, _Z17MT_generate_arrayv@rel32@hi+12
	s_delay_alu instid0(SALU_CYCLE_1)
	s_swappc_b64 s[30:31], s[0:1]
	v_mov_b32_e32 v0, 0
	s_or_b32 exec_lo, exec_lo, s11
	s_and_saveexec_b32 s0, s5
	s_cbranch_execz .LBB1_322
.LBB1_324:                              ;   in Loop: Header=BB1_19 Depth=1
	flat_store_b8 v[49:50], v0 dlc
	s_waitcnt_vscnt null, 0x0
	s_or_b32 exec_lo, exec_lo, s0
	s_and_saveexec_b32 s1, s10
	s_cbranch_execz .LBB1_330
.LBB1_325:                              ;   in Loop: Header=BB1_19 Depth=1
	v_lshl_or_b32 v0, v0, 7, v142
	v_mul_f32_e32 v1, 0x4f800000, v157
	v_cmp_gt_f32_e32 vcc_lo, 0xf800000, v157
	s_delay_alu instid0(VALU_DEP_3) | instskip(SKIP_3) | instid1(VALU_DEP_1)
	v_mad_u32_u24 v0, 0x180, v30, v0
	ds_load_b32 v0, v0 offset:6464
	s_waitcnt lgkmcnt(0)
	v_dual_cndmask_b32 v1, v157, v1 :: v_dual_mul_f32 v0, 0x40c90fdb, v0
	v_sqrt_f32_e32 v2, v1
	s_waitcnt_depctr 0xfff
	v_dual_mul_f32 v0, 0.15915494, v0 :: v_dual_add_nc_u32 v3, -1, v2
	v_add_nc_u32_e32 v4, 1, v2
	s_delay_alu instid0(VALU_DEP_2) | instskip(NEXT) | instid1(VALU_DEP_2)
	v_fma_f32 v5, -v3, v2, v1
	v_fma_f32 v6, -v4, v2, v1
	s_delay_alu instid0(VALU_DEP_2) | instskip(SKIP_1) | instid1(VALU_DEP_2)
	v_cmp_ge_f32_e64 s0, 0, v5
	v_mul_f32_e32 v5, v27, v27
	v_cndmask_b32_e64 v2, v2, v3, s0
	s_delay_alu instid0(VALU_DEP_4) | instskip(NEXT) | instid1(VALU_DEP_1)
	v_cmp_lt_f32_e64 s0, 0, v6
	v_cndmask_b32_e64 v2, v2, v4, s0
	v_sin_f32_e32 v4, v0
	s_mov_b32 s0, exec_lo
	s_delay_alu instid0(VALU_DEP_1) | instskip(NEXT) | instid1(VALU_DEP_1)
	v_mul_f32_e32 v3, 0x37800000, v2
	v_cndmask_b32_e32 v3, v2, v3, vcc_lo
	v_cos_f32_e32 v2, v0
	v_sub_f32_e32 v0, 1.0, v156
	v_cmp_class_f32_e64 vcc_lo, v1, 0x260
	s_delay_alu instid0(VALU_DEP_3)
	v_cndmask_b32_e32 v3, v3, v1, vcc_lo
	v_fmac_f32_e32 v5, v28, v28
	s_delay_alu instid0(TRANS32_DEP_2) | instid1(VALU_DEP_2)
	v_mul_f32_e32 v1, v3, v4
	s_waitcnt_depctr 0xfff
	v_mul_f32_e32 v4, v3, v2
	v_cmpx_ngt_f32_e32 0x1e3ce508, v5
	s_xor_b32 s2, exec_lo, s0
	s_cbranch_execz .LBB1_327
; %bb.326:                              ;   in Loop: Header=BB1_19 Depth=1
	v_cmp_gt_f32_e32 vcc_lo, 0xf800000, v5
	v_mul_f32_e32 v4, 0x4f800000, v5
	v_mul_f32_e32 v2, v3, v2
	s_delay_alu instid0(VALU_DEP_2) | instskip(NEXT) | instid1(VALU_DEP_1)
	v_cndmask_b32_e32 v4, v5, v4, vcc_lo
	v_sqrt_f32_e32 v5, v4
	s_waitcnt_depctr 0xfff
	v_add_nc_u32_e32 v7, 1, v5
	v_add_nc_u32_e32 v6, -1, v5
	s_delay_alu instid0(VALU_DEP_2) | instskip(NEXT) | instid1(VALU_DEP_2)
	v_fma_f32 v9, -v7, v5, v4
	v_fma_f32 v8, -v6, v5, v4
	s_delay_alu instid0(VALU_DEP_1) | instskip(NEXT) | instid1(VALU_DEP_1)
	v_cmp_ge_f32_e64 s0, 0, v8
	v_cndmask_b32_e64 v5, v5, v6, s0
	s_delay_alu instid0(VALU_DEP_4) | instskip(NEXT) | instid1(VALU_DEP_1)
	v_cmp_lt_f32_e64 s0, 0, v9
	v_cndmask_b32_e64 v5, v5, v7, s0
	s_delay_alu instid0(VALU_DEP_1) | instskip(NEXT) | instid1(VALU_DEP_1)
	v_mul_f32_e32 v6, 0x37800000, v5
	v_cndmask_b32_e32 v5, v5, v6, vcc_lo
	v_cmp_class_f32_e64 vcc_lo, v4, 0x260
	s_delay_alu instid0(VALU_DEP_2) | instskip(NEXT) | instid1(VALU_DEP_1)
	v_cndmask_b32_e32 v4, v5, v4, vcc_lo
	v_div_scale_f32 v5, null, v4, v4, v28
	v_div_scale_f32 v6, null, v4, v4, v27
	v_div_scale_f32 v11, vcc_lo, v28, v4, v28
	s_delay_alu instid0(VALU_DEP_3) | instskip(NEXT) | instid1(VALU_DEP_2)
	v_rcp_f32_e32 v7, v5
	v_rcp_f32_e32 v8, v6
	s_waitcnt_depctr 0xfff
	v_fma_f32 v9, -v5, v7, 1.0
	v_fma_f32 v10, -v6, v8, 1.0
	s_delay_alu instid0(VALU_DEP_1) | instskip(SKIP_1) | instid1(VALU_DEP_2)
	v_dual_fmac_f32 v7, v9, v7 :: v_dual_fmac_f32 v8, v10, v8
	v_div_scale_f32 v9, s0, v27, v4, v27
	v_mul_f32_e32 v10, v11, v7
	s_delay_alu instid0(VALU_DEP_1) | instskip(NEXT) | instid1(VALU_DEP_1)
	v_fma_f32 v13, -v5, v10, v11
	v_fmac_f32_e32 v10, v13, v7
	s_delay_alu instid0(VALU_DEP_1) | instskip(NEXT) | instid1(VALU_DEP_1)
	v_fma_f32 v5, -v5, v10, v11
	v_div_fmas_f32 v5, v5, v7, v10
	s_mov_b32 vcc_lo, s0
	s_delay_alu instid0(VALU_DEP_1) | instskip(NEXT) | instid1(VALU_DEP_1)
	v_div_fixup_f32 v5, v5, v4, v28
	v_mul_f32_e32 v3, v29, v5
	v_mul_f32_e32 v12, v9, v8
	;; [unrolled: 1-line block ×3, first 2 shown]
	s_delay_alu instid0(VALU_DEP_3) | instskip(NEXT) | instid1(VALU_DEP_3)
	v_mul_f32_e32 v3, v3, v2
	v_fma_f32 v14, -v6, v12, v9
	s_delay_alu instid0(VALU_DEP_1) | instskip(NEXT) | instid1(VALU_DEP_1)
	v_fmac_f32_e32 v12, v14, v8
	v_fma_f32 v6, -v6, v12, v9
	s_delay_alu instid0(VALU_DEP_1) | instskip(NEXT) | instid1(VALU_DEP_1)
	v_div_fmas_f32 v6, v6, v8, v12
	v_div_fixup_f32 v6, v6, v4, v27
	s_delay_alu instid0(VALU_DEP_1) | instskip(SKIP_1) | instid1(VALU_DEP_1)
	v_mul_f32_e32 v7, v29, v6
	v_fmac_f32_e32 v3, v6, v1
	v_fmac_f32_e32 v3, v28, v0
	s_delay_alu instid0(VALU_DEP_3) | instskip(SKIP_1) | instid1(VALU_DEP_3)
	v_fma_f32 v5, v7, v2, -v5
	v_mul_f32_e32 v1, v4, v2
                                        ; implicit-def: $vgpr4
	v_mov_b32_e32 v28, v3
	s_delay_alu instid0(VALU_DEP_3) | instskip(NEXT) | instid1(VALU_DEP_3)
	v_fmac_f32_e32 v5, v27, v0
	v_fma_f32 v29, v29, v0, -v1
                                        ; implicit-def: $vgpr0
                                        ; implicit-def: $vgpr1
	s_delay_alu instid0(VALU_DEP_2)
	v_mov_b32_e32 v27, v5
.LBB1_327:                              ;   in Loop: Header=BB1_19 Depth=1
	s_and_not1_saveexec_b32 s0, s2
; %bb.328:                              ;   in Loop: Header=BB1_19 Depth=1
	s_delay_alu instid0(VALU_DEP_2)
	v_mul_f32_e32 v29, v29, v0
	v_dual_mov_b32 v27, v4 :: v_dual_mov_b32 v28, v1
; %bb.329:                              ;   in Loop: Header=BB1_19 Depth=1
	s_or_b32 exec_lo, exec_lo, s0
.LBB1_330:                              ;   in Loop: Header=BB1_19 Depth=1
	s_delay_alu instid0(SALU_CYCLE_1) | instskip(SKIP_1) | instid1(VALU_DEP_1)
	s_or_b32 exec_lo, exec_lo, s1
	v_cndmask_b32_e64 v0, 0, 1, s10
	v_cmp_ne_u32_e32 vcc_lo, 0, v0
	s_and_saveexec_b32 s0, s5
	s_cbranch_execz .LBB1_332
; %bb.331:                              ;   in Loop: Header=BB1_19 Depth=1
	flat_load_b32 v0, v[67:68] glc dlc
	s_waitcnt vmcnt(0)
	s_bcnt1_i32_b32 s1, vcc_lo
	s_waitcnt lgkmcnt(0)
	v_add_nc_u32_e32 v0, s1, v0
	flat_store_b32 v[67:68], v0 dlc
	s_waitcnt_vscnt null, 0x0
	flat_load_b32 v0, v[59:60] glc dlc
	s_waitcnt vmcnt(0) lgkmcnt(0)
	v_add_nc_u32_e32 v0, 1, v0
	flat_store_b32 v[59:60], v0 dlc
	s_waitcnt_vscnt null, 0x0
.LBB1_332:                              ;   in Loop: Header=BB1_19 Depth=1
	s_or_b32 exec_lo, exec_lo, s0
	v_mul_f32_e32 v0, v24, v36
	v_cndmask_b32_e64 v138, v138, 2, s10
	v_add_nc_u32_e32 v32, v32, v23
	s_delay_alu instid0(VALU_DEP_3)
	v_cndmask_b32_e64 v24, v24, v0, s10
.LBB1_333:                              ;   in Loop: Header=BB1_19 Depth=1
	v_or_b32_e32 v0, v33, v23
	s_delay_alu instid0(VALU_DEP_1) | instskip(SKIP_1) | instid1(VALU_DEP_1)
	v_mov_b32_e32 v1, v0
	;;#ASMSTART
	;;#ASMEND
	v_cmp_ne_u32_e32 vcc_lo, 0, v1
	s_cmp_eq_u32 vcc_lo, exec_lo
	s_cbranch_scc1 .LBB1_394
; %bb.334:                              ;   in Loop: Header=BB1_19 Depth=1
	v_and_b32_e32 v1, 0xff, v138
	s_delay_alu instid0(VALU_DEP_1) | instskip(NEXT) | instid1(VALU_DEP_1)
	v_cmp_eq_u16_e64 s0, 5, v1
	v_cndmask_b32_e64 v23, 0, 1, s0
	s_delay_alu instid0(VALU_DEP_1) | instskip(SKIP_1) | instid1(VALU_DEP_1)
	v_mov_b32_e32 v1, v23
	;;#ASMSTART
	;;#ASMEND
	v_cmp_ne_u32_e32 vcc_lo, 0, v1
	s_cbranch_vccz .LBB1_338
; %bb.335:                              ;   in Loop: Header=BB1_19 Depth=1
	v_cndmask_b32_e64 v1, 0, 1, s0
	s_delay_alu instid0(VALU_DEP_1)
	v_cmp_ne_u32_e32 vcc_lo, 0, v1
	s_and_saveexec_b32 s1, s5
	s_cbranch_execz .LBB1_337
; %bb.336:                              ;   in Loop: Header=BB1_19 Depth=1
	flat_load_b32 v1, v[69:70] glc dlc
	s_waitcnt vmcnt(0)
	s_bcnt1_i32_b32 s2, vcc_lo
	s_waitcnt lgkmcnt(0)
	v_add_nc_u32_e32 v1, s2, v1
	flat_store_b32 v[69:70], v1 dlc
	s_waitcnt_vscnt null, 0x0
	flat_load_b32 v1, v[59:60] glc dlc
	s_waitcnt vmcnt(0) lgkmcnt(0)
	v_add_nc_u32_e32 v1, 1, v1
	flat_store_b32 v[59:60], v1 dlc
	s_waitcnt_vscnt null, 0x0
.LBB1_337:                              ;   in Loop: Header=BB1_19 Depth=1
	s_or_b32 exec_lo, exec_lo, s1
	v_cndmask_b32_e64 v138, v138, 8, s0
.LBB1_338:                              ;   in Loop: Header=BB1_19 Depth=1
	v_or_b32_e32 v33, v0, v23
	s_delay_alu instid0(VALU_DEP_1) | instskip(SKIP_1) | instid1(VALU_DEP_1)
	v_mov_b32_e32 v0, v33
	;;#ASMSTART
	;;#ASMEND
	v_cmp_ne_u32_e32 vcc_lo, 0, v0
	s_cmp_eq_u32 vcc_lo, exec_lo
	s_cbranch_scc1 .LBB1_394
; %bb.339:                              ;   in Loop: Header=BB1_19 Depth=1
	v_and_b32_e32 v0, 0xff, v138
	s_delay_alu instid0(VALU_DEP_1) | instskip(NEXT) | instid1(VALU_DEP_1)
	v_cmp_eq_u16_e64 s10, 3, v0
	v_cndmask_b32_e64 v23, 0, 1, s10
	s_delay_alu instid0(VALU_DEP_1) | instskip(SKIP_1) | instid1(VALU_DEP_1)
	v_mov_b32_e32 v1, v23
	;;#ASMSTART
	;;#ASMEND
	v_cmp_ne_u32_e32 vcc_lo, 0, v1
	v_cmp_ne_u16_e64 s0, 3, v0
	s_cbranch_vccz .LBB1_383
; %bb.340:                              ;   in Loop: Header=BB1_19 Depth=1
                                        ; implicit-def: $vgpr1
	s_and_saveexec_b32 s1, s10
	s_cbranch_execz .LBB1_342
; %bb.341:                              ;   in Loop: Header=BB1_19 Depth=1
	v_lshlrev_b64 v[0:1], 4, v[39:40]
	v_add_nc_u32_e32 v32, 0x10000, v32
	v_mov_b32_e32 v138, 2
	s_delay_alu instid0(VALU_DEP_3) | instskip(NEXT) | instid1(VALU_DEP_4)
	v_add_co_u32 v0, vcc_lo, s50, v0
	v_add_co_ci_u32_e32 v1, vcc_lo, s51, v1, vcc_lo
	global_load_u16 v1, v[0:1], off
.LBB1_342:                              ;   in Loop: Header=BB1_19 Depth=1
	s_or_b32 exec_lo, exec_lo, s1
	s_waitcnt vmcnt(0)
	v_and_b32_e32 v0, 0xffff, v1
                                        ; implicit-def: $sgpr1
	s_and_saveexec_b32 s2, s0
	s_delay_alu instid0(SALU_CYCLE_1)
	s_xor_b32 s0, exec_lo, s2
; %bb.343:                              ;   in Loop: Header=BB1_19 Depth=1
	v_and_b32_e32 v0, 0xffff, v1
	s_mov_b32 s1, 0
; %bb.344:                              ;   in Loop: Header=BB1_19 Depth=1
	s_or_saveexec_b32 s0, s0
	v_mov_b32_e32 v36, s1
	v_mov_b32_e32 v38, s1
	s_xor_b32 exec_lo, exec_lo, s0
	s_cbranch_execz .LBB1_346
; %bb.345:                              ;   in Loop: Header=BB1_19 Depth=1
	v_cmp_gt_f32_e32 vcc_lo, 0x800000, v24
	v_mul_f32_e32 v38, 0x42a14f65, v24
	v_cndmask_b32_e64 v3, 1.0, 0x4f800000, vcc_lo
	s_delay_alu instid0(VALU_DEP_1) | instskip(NEXT) | instid1(VALU_DEP_1)
	v_mul_f32_e32 v3, v24, v3
	v_log_f32_e32 v3, v3
	s_waitcnt_depctr 0xfff
	v_dual_mul_f32 v4, 0x3f317217, v3 :: v_dual_lshlrev_b32 v1, 3, v0
	global_load_b64 v[1:2], v1, s[52:53]
	v_fma_f32 v5, 0x3f317217, v3, -v4
	s_delay_alu instid0(VALU_DEP_1) | instskip(NEXT) | instid1(VALU_DEP_1)
	v_fmac_f32_e32 v5, 0x3377d1cf, v3
	v_add_f32_e32 v4, v4, v5
	v_cndmask_b32_e64 v5, 0, 0x41b17218, vcc_lo
	v_cmp_gt_f32_e64 vcc_lo, 0x7f800000, |v3|
	s_delay_alu instid0(VALU_DEP_3) | instskip(NEXT) | instid1(VALU_DEP_1)
	v_cndmask_b32_e32 v3, v3, v4, vcc_lo
	v_sub_f32_e32 v3, v3, v5
	s_waitcnt vmcnt(0)
	s_delay_alu instid0(VALU_DEP_1) | instskip(NEXT) | instid1(VALU_DEP_1)
	v_fmac_f32_e32 v1, v3, v2
	v_cvt_i32_f32_e32 v1, v1
	s_delay_alu instid0(VALU_DEP_1) | instskip(NEXT) | instid1(VALU_DEP_1)
	v_mad_u32_u24 v1, 0xc8, v0, v1
	v_ashrrev_i32_e32 v2, 31, v1
	s_delay_alu instid0(VALU_DEP_1) | instskip(NEXT) | instid1(VALU_DEP_1)
	v_lshlrev_b64 v[1:2], 3, v[1:2]
	v_add_co_u32 v1, vcc_lo, s74, v1
	s_delay_alu instid0(VALU_DEP_2)
	v_add_co_ci_u32_e32 v2, vcc_lo, s75, v2, vcc_lo
	global_load_b64 v[36:37], v[1:2], off
	s_waitcnt vmcnt(0)
	v_fmac_f32_e32 v36, v3, v37
.LBB1_346:                              ;   in Loop: Header=BB1_19 Depth=1
	s_or_b32 exec_lo, exec_lo, s0
	v_mul_u32_u24_e32 v152, 0x64, v0
	v_mad_u32_u24 v153, 0x64, v0, -1
	v_dual_mov_b32 v137, 0 :: v_dual_mov_b32 v154, 0
	v_mov_b32_e32 v37, 0
	s_xor_b32 s92, s10, -1
	s_branch .LBB1_349
.LBB1_347:                              ;   in Loop: Header=BB1_349 Depth=2
	s_or_b32 exec_lo, exec_lo, s2
	v_mul_f32_e32 v137, v37, v37
	s_or_not1_b32 s92, s1, exec_lo
.LBB1_348:                              ;   in Loop: Header=BB1_349 Depth=2
	s_or_b32 exec_lo, exec_lo, s0
	v_cndmask_b32_e64 v0, 0, 1, s92
	;;#ASMSTART
	;;#ASMEND
	s_delay_alu instid0(VALU_DEP_1)
	v_cmp_ne_u32_e32 vcc_lo, 0, v0
	s_cmp_lg_u32 vcc_lo, exec_lo
	s_cbranch_scc0 .LBB1_370
.LBB1_349:                              ;   Parent Loop BB1_19 Depth=1
                                        ; =>  This Loop Header: Depth=2
                                        ;       Child Loop BB1_352 Depth 3
                                        ;         Child Loop BB1_361 Depth 4
	s_xor_b32 s11, s92, -1
	s_branch .LBB1_352
.LBB1_350:                              ;   in Loop: Header=BB1_352 Depth=3
	s_or_b32 exec_lo, exec_lo, s3
	s_delay_alu instid0(VALU_DEP_1) | instskip(NEXT) | instid1(VALU_DEP_1)
	v_lshlrev_b64 v[0:1], 4, v[0:1]
	v_add_co_u32 v0, vcc_lo, s72, v0
	s_delay_alu instid0(VALU_DEP_2) | instskip(SKIP_3) | instid1(VALU_DEP_1)
	v_add_co_ci_u32_e32 v1, vcc_lo, s73, v1, vcc_lo
	global_load_b128 v[0:3], v[0:1], off
	s_waitcnt vmcnt(0)
	v_sub_f32_e32 v1, v4, v1
	v_fma_f32 v1, v1, v3, 1.0
	s_delay_alu instid0(VALU_DEP_1) | instskip(SKIP_1) | instid1(VALU_DEP_1)
	v_cmp_gt_f32_e32 vcc_lo, 0x800000, v1
	v_cndmask_b32_e64 v3, 1.0, 0x4f800000, vcc_lo
	v_mul_f32_e32 v1, v1, v3
	s_delay_alu instid0(VALU_DEP_1) | instskip(SKIP_2) | instid1(VALU_DEP_1)
	v_log_f32_e32 v1, v1
	s_waitcnt_depctr 0xfff
	v_mul_f32_e32 v3, 0x3f317217, v1
	v_fma_f32 v4, 0x3f317217, v1, -v3
	s_delay_alu instid0(VALU_DEP_1) | instskip(NEXT) | instid1(VALU_DEP_1)
	v_fmac_f32_e32 v4, 0x3377d1cf, v1
	v_add_f32_e32 v3, v3, v4
	v_cndmask_b32_e64 v4, 0, 0x41b17218, vcc_lo
	v_cmp_gt_f32_e64 vcc_lo, 0x7f800000, |v1|
	s_delay_alu instid0(VALU_DEP_3) | instskip(NEXT) | instid1(VALU_DEP_1)
	v_cndmask_b32_e32 v1, v1, v3, vcc_lo
	v_sub_f32_e32 v1, v1, v4
	s_delay_alu instid0(VALU_DEP_1) | instskip(NEXT) | instid1(VALU_DEP_1)
	v_mul_f32_e32 v1, v2, v1
	v_mul_f32_e32 v2, 0x3fb8aa3b, v1
	v_cmp_ngt_f32_e32 vcc_lo, 0xc2ce8ed0, v1
	s_delay_alu instid0(VALU_DEP_2) | instskip(SKIP_1) | instid1(VALU_DEP_1)
	v_fma_f32 v3, 0x3fb8aa3b, v1, -v2
	v_rndne_f32_e32 v4, v2
	v_dual_fmac_f32 v3, 0x32a5705f, v1 :: v_dual_sub_f32 v2, v2, v4
	s_delay_alu instid0(VALU_DEP_1) | instskip(SKIP_1) | instid1(VALU_DEP_2)
	v_add_f32_e32 v2, v2, v3
	v_cvt_i32_f32_e32 v3, v4
	v_exp_f32_e32 v2, v2
	s_waitcnt_depctr 0xfff
	v_ldexp_f32 v2, v2, v3
	s_delay_alu instid0(VALU_DEP_1) | instskip(SKIP_1) | instid1(VALU_DEP_2)
	v_cndmask_b32_e32 v2, 0, v2, vcc_lo
	v_cmp_nlt_f32_e32 vcc_lo, 0x42b17218, v1
	v_cndmask_b32_e32 v1, 0x7f800000, v2, vcc_lo
	s_delay_alu instid0(VALU_DEP_1) | instskip(NEXT) | instid1(VALU_DEP_1)
	v_mul_f32_e32 v154, v0, v1
	v_cmp_lt_f32_e32 vcc_lo, v154, v38
	s_or_not1_b32 s92, vcc_lo, exec_lo
.LBB1_351:                              ;   in Loop: Header=BB1_352 Depth=3
	s_or_b32 exec_lo, exec_lo, s2
	v_cndmask_b32_e64 v0, 0, 1, s92
	;;#ASMSTART
	;;#ASMEND
	s_delay_alu instid0(VALU_DEP_1)
	v_cmp_ne_u32_e32 vcc_lo, 0, v0
	s_cmp_lg_u32 vcc_lo, exec_lo
	s_cbranch_scc0 .LBB1_363
.LBB1_352:                              ;   Parent Loop BB1_19 Depth=1
                                        ;     Parent Loop BB1_349 Depth=2
                                        ; =>    This Loop Header: Depth=3
                                        ;         Child Loop BB1_361 Depth 4
	flat_load_u8 v0, v[49:50] glc dlc
	s_waitcnt vmcnt(0) lgkmcnt(0)
	v_cmp_lt_u32_e32 vcc_lo, 1, v0
	v_add_nc_u32_e32 v0, 1, v0
	s_and_saveexec_b32 s93, vcc_lo
	s_cbranch_execz .LBB1_354
; %bb.353:                              ;   in Loop: Header=BB1_352 Depth=3
	s_add_u32 s8, s6, 8
	s_addc_u32 s9, s7, 0
	s_getpc_b64 s[0:1]
	s_add_u32 s0, s0, _Z17MT_generate_arrayv@rel32@lo+4
	s_addc_u32 s1, s1, _Z17MT_generate_arrayv@rel32@hi+12
	s_delay_alu instid0(SALU_CYCLE_1)
	s_swappc_b64 s[30:31], s[0:1]
	v_mov_b32_e32 v0, 0
.LBB1_354:                              ;   in Loop: Header=BB1_352 Depth=3
	s_or_b32 exec_lo, exec_lo, s93
	s_and_saveexec_b32 s0, s5
	s_cbranch_execz .LBB1_356
; %bb.355:                              ;   in Loop: Header=BB1_352 Depth=3
	flat_store_b8 v[49:50], v0 dlc
	s_waitcnt_vscnt null, 0x0
.LBB1_356:                              ;   in Loop: Header=BB1_352 Depth=3
	s_or_b32 exec_lo, exec_lo, s0
	s_xor_b32 s0, s92, -1
	s_mov_b32 s92, -1
	s_and_saveexec_b32 s2, s0
	s_cbranch_execz .LBB1_351
; %bb.357:                              ;   in Loop: Header=BB1_352 Depth=3
	v_lshl_or_b32 v0, v0, 7, v142
	s_delay_alu instid0(VALU_DEP_1) | instskip(SKIP_3) | instid1(VALU_DEP_1)
	v_mad_u32_u24 v0, 0x180, v30, v0
	ds_load_b32 v0, v0 offset:6464
	s_waitcnt lgkmcnt(0)
	v_mul_f32_e32 v4, v36, v0
	v_mul_f32_e32 v0, 0x42c60000, v4
	s_delay_alu instid0(VALU_DEP_1) | instskip(NEXT) | instid1(VALU_DEP_1)
	v_cvt_i32_f32_e32 v0, v0
	v_add_nc_u32_e32 v0, v152, v0
	s_delay_alu instid0(VALU_DEP_1) | instskip(NEXT) | instid1(VALU_DEP_1)
	v_ashrrev_i32_e32 v1, 31, v0
	v_lshlrev_b64 v[0:1], 2, v[0:1]
	s_delay_alu instid0(VALU_DEP_1) | instskip(NEXT) | instid1(VALU_DEP_2)
	v_add_co_u32 v0, vcc_lo, s76, v0
	v_add_co_ci_u32_e32 v1, vcc_lo, s77, v1, vcc_lo
	global_load_b64 v[2:3], v[0:1], off
	s_waitcnt vmcnt(0)
	v_add_nc_u32_e32 v5, -1, v2
	v_add_nc_u32_e32 v0, -1, v3
	s_delay_alu instid0(VALU_DEP_1) | instskip(SKIP_1) | instid1(SALU_CYCLE_1)
	v_cmp_le_i32_e32 vcc_lo, v0, v5
                                        ; implicit-def: $vgpr0_vgpr1
	s_and_saveexec_b32 s0, vcc_lo
	s_xor_b32 s0, exec_lo, s0
; %bb.358:                              ;   in Loop: Header=BB1_352 Depth=3
	v_add_nc_u32_e32 v0, v5, v152
                                        ; implicit-def: $vgpr5
                                        ; implicit-def: $vgpr2_vgpr3
	s_delay_alu instid0(VALU_DEP_1)
	v_ashrrev_i32_e32 v1, 31, v0
; %bb.359:                              ;   in Loop: Header=BB1_352 Depth=3
	s_and_not1_saveexec_b32 s3, s0
	s_cbranch_execz .LBB1_350
; %bb.360:                              ;   in Loop: Header=BB1_352 Depth=3
	v_add_nc_u32_e32 v0, v153, v2
	s_mov_b32 s4, 0
	s_delay_alu instid0(VALU_DEP_1) | instskip(NEXT) | instid1(VALU_DEP_1)
	v_ashrrev_i32_e32 v1, 31, v0
	v_lshlrev_b64 v[2:3], 4, v[0:1]
	s_delay_alu instid0(VALU_DEP_1) | instskip(NEXT) | instid1(VALU_DEP_2)
	v_add_co_u32 v2, vcc_lo, s89, v2
	v_add_co_ci_u32_e32 v3, vcc_lo, s90, v3, vcc_lo
	v_add_co_u32 v0, vcc_lo, v0, -1
	v_add_co_ci_u32_e32 v1, vcc_lo, -1, v1, vcc_lo
	.p2align	6
.LBB1_361:                              ;   Parent Loop BB1_19 Depth=1
                                        ;     Parent Loop BB1_349 Depth=2
                                        ;       Parent Loop BB1_352 Depth=3
                                        ; =>      This Inner Loop Header: Depth=4
	global_load_b32 v6, v[2:3], off
	v_cmp_lt_i32_e32 vcc_lo, 0x61, v5
	v_add_co_u32 v2, s0, v2, 16
	s_delay_alu instid0(VALU_DEP_1) | instskip(SKIP_4) | instid1(VALU_DEP_1)
	v_add_co_ci_u32_e64 v3, s0, 0, v3, s0
	v_add_co_u32 v0, s0, v0, 1
	v_add_nc_u32_e32 v5, 1, v5
	s_waitcnt vmcnt(0)
	v_cmp_lt_f32_e64 s1, v4, v6
	s_or_b32 s1, vcc_lo, s1
	v_add_co_ci_u32_e64 v1, vcc_lo, 0, v1, s0
	s_and_b32 s0, exec_lo, s1
	s_delay_alu instid0(SALU_CYCLE_1) | instskip(NEXT) | instid1(SALU_CYCLE_1)
	s_or_b32 s4, s0, s4
	s_and_not1_b32 exec_lo, exec_lo, s4
	s_cbranch_execnz .LBB1_361
; %bb.362:                              ;   in Loop: Header=BB1_352 Depth=3
	s_or_b32 exec_lo, exec_lo, s4
	s_branch .LBB1_350
.LBB1_363:                              ;   in Loop: Header=BB1_349 Depth=2
	flat_load_u8 v0, v[49:50] glc dlc
	s_waitcnt vmcnt(0) lgkmcnt(0)
	v_cmp_lt_u32_e32 vcc_lo, 1, v0
	v_add_nc_u32_e32 v0, 1, v0
	s_and_saveexec_b32 s92, vcc_lo
	s_cbranch_execnz .LBB1_366
; %bb.364:                              ;   in Loop: Header=BB1_349 Depth=2
	s_or_b32 exec_lo, exec_lo, s92
	s_and_saveexec_b32 s0, s5
	s_cbranch_execnz .LBB1_367
.LBB1_365:                              ;   in Loop: Header=BB1_349 Depth=2
	s_or_b32 exec_lo, exec_lo, s0
	s_mov_b32 s92, -1
	s_and_saveexec_b32 s0, s11
	s_cbranch_execz .LBB1_348
	s_branch .LBB1_368
.LBB1_366:                              ;   in Loop: Header=BB1_349 Depth=2
	s_add_u32 s8, s6, 8
	s_addc_u32 s9, s7, 0
	s_getpc_b64 s[0:1]
	s_add_u32 s0, s0, _Z17MT_generate_arrayv@rel32@lo+4
	s_addc_u32 s1, s1, _Z17MT_generate_arrayv@rel32@hi+12
	s_delay_alu instid0(SALU_CYCLE_1)
	s_swappc_b64 s[30:31], s[0:1]
	v_mov_b32_e32 v0, 0
	s_or_b32 exec_lo, exec_lo, s92
	s_and_saveexec_b32 s0, s5
	s_cbranch_execz .LBB1_365
.LBB1_367:                              ;   in Loop: Header=BB1_349 Depth=2
	flat_store_b8 v[49:50], v0 dlc
	s_waitcnt_vscnt null, 0x0
	s_or_b32 exec_lo, exec_lo, s0
	s_mov_b32 s92, -1
	s_and_saveexec_b32 s0, s11
	s_cbranch_execz .LBB1_348
.LBB1_368:                              ;   in Loop: Header=BB1_349 Depth=2
	v_div_scale_f32 v1, null, v24, v24, v154
	v_lshl_or_b32 v0, v0, 7, v142
	s_mov_b32 s1, 0
	s_mov_b32 s2, exec_lo
	s_delay_alu instid0(VALU_DEP_2) | instskip(NEXT) | instid1(VALU_DEP_1)
	v_rcp_f32_e32 v2, v1
	v_mad_u32_u24 v0, 0x180, v30, v0
	ds_load_b32 v0, v0 offset:6464
	v_fma_f32 v3, -v1, v2, 1.0
	s_delay_alu instid0(VALU_DEP_1) | instskip(SKIP_1) | instid1(VALU_DEP_1)
	v_fmac_f32_e32 v2, v3, v2
	v_div_scale_f32 v3, vcc_lo, v154, v24, v154
	v_mul_f32_e32 v4, v3, v2
	s_delay_alu instid0(VALU_DEP_1) | instskip(SKIP_2) | instid1(VALU_DEP_2)
	v_fma_f32 v5, -v1, v4, v3
	s_waitcnt lgkmcnt(0)
	v_add_f32_e32 v0, v0, v0
	v_fmac_f32_e32 v4, v5, v2
	s_delay_alu instid0(VALU_DEP_1) | instskip(NEXT) | instid1(VALU_DEP_1)
	v_fma_f32 v1, -v1, v4, v3
	v_div_fmas_f32 v1, v1, v2, v4
	s_delay_alu instid0(VALU_DEP_1) | instskip(NEXT) | instid1(VALU_DEP_1)
	v_div_fixup_f32 v154, v1, v24, v154
	v_mul_f32_e32 v1, 0xb9a1307f, v154
	s_delay_alu instid0(VALU_DEP_1) | instskip(NEXT) | instid1(VALU_DEP_1)
	v_fma_f32 v37, v154, v1, 1.0
	v_fma_f32 v1, v37, v37, 1.0
	s_delay_alu instid0(VALU_DEP_1)
	v_cmpx_lt_f32_e32 v0, v1
	s_cbranch_execz .LBB1_347
; %bb.369:                              ;   in Loop: Header=BB1_349 Depth=2
	s_mov_b32 s1, exec_lo
	s_branch .LBB1_347
.LBB1_370:                              ;   in Loop: Header=BB1_19 Depth=1
	flat_load_u8 v0, v[49:50] glc dlc
	s_waitcnt vmcnt(0) lgkmcnt(0)
	v_cmp_lt_u32_e32 vcc_lo, 1, v0
	v_add_nc_u32_e32 v0, 1, v0
	s_and_saveexec_b32 s11, vcc_lo
	s_cbranch_execnz .LBB1_373
; %bb.371:                              ;   in Loop: Header=BB1_19 Depth=1
	s_or_b32 exec_lo, exec_lo, s11
	s_and_saveexec_b32 s0, s5
	s_cbranch_execnz .LBB1_374
.LBB1_372:                              ;   in Loop: Header=BB1_19 Depth=1
	s_or_b32 exec_lo, exec_lo, s0
	s_and_saveexec_b32 s1, s10
	s_cbranch_execnz .LBB1_375
	s_branch .LBB1_380
.LBB1_373:                              ;   in Loop: Header=BB1_19 Depth=1
	s_add_u32 s8, s6, 8
	s_addc_u32 s9, s7, 0
	s_getpc_b64 s[0:1]
	s_add_u32 s0, s0, _Z17MT_generate_arrayv@rel32@lo+4
	s_addc_u32 s1, s1, _Z17MT_generate_arrayv@rel32@hi+12
	s_delay_alu instid0(SALU_CYCLE_1)
	s_swappc_b64 s[30:31], s[0:1]
	v_mov_b32_e32 v0, 0
	s_or_b32 exec_lo, exec_lo, s11
	s_and_saveexec_b32 s0, s5
	s_cbranch_execz .LBB1_372
.LBB1_374:                              ;   in Loop: Header=BB1_19 Depth=1
	flat_store_b8 v[49:50], v0 dlc
	s_waitcnt_vscnt null, 0x0
	s_or_b32 exec_lo, exec_lo, s0
	s_and_saveexec_b32 s1, s10
	s_cbranch_execz .LBB1_380
.LBB1_375:                              ;   in Loop: Header=BB1_19 Depth=1
	v_lshl_or_b32 v0, v0, 7, v142
	s_delay_alu instid0(VALU_DEP_1) | instskip(SKIP_3) | instid1(VALU_DEP_1)
	v_mad_u32_u24 v0, 0x180, v30, v0
	ds_load_b32 v0, v0 offset:6464
	s_waitcnt lgkmcnt(0)
	v_dual_sub_f32 v1, 1.0, v137 :: v_dual_mul_f32 v0, 0x40c90fdb, v0
	v_cmp_gt_f32_e32 vcc_lo, 0xf800000, v1
	v_mul_f32_e32 v2, 0x4f800000, v1
	s_delay_alu instid0(VALU_DEP_1) | instskip(NEXT) | instid1(VALU_DEP_1)
	v_cndmask_b32_e32 v2, v1, v2, vcc_lo
	v_sqrt_f32_e32 v1, v2
	s_waitcnt_depctr 0xfff
	v_add_nc_u32_e32 v3, -1, v1
	v_add_nc_u32_e32 v4, 1, v1
	s_delay_alu instid0(VALU_DEP_2) | instskip(NEXT) | instid1(VALU_DEP_2)
	v_fma_f32 v5, -v3, v1, v2
	v_fma_f32 v6, -v4, v1, v2
	s_delay_alu instid0(VALU_DEP_2) | instskip(NEXT) | instid1(VALU_DEP_1)
	v_cmp_ge_f32_e64 s0, 0, v5
	v_cndmask_b32_e64 v1, v1, v3, s0
	s_delay_alu instid0(VALU_DEP_3) | instskip(NEXT) | instid1(VALU_DEP_1)
	v_cmp_lt_f32_e64 s0, 0, v6
	v_cndmask_b32_e64 v1, v1, v4, s0
	v_mul_f32_e32 v0, 0.15915494, v0
	s_mov_b32 s0, exec_lo
	s_delay_alu instid0(VALU_DEP_2) | instskip(NEXT) | instid1(VALU_DEP_2)
	v_mul_f32_e32 v3, 0x37800000, v1
	v_sin_f32_e32 v5, v0
	s_delay_alu instid0(VALU_DEP_1) | instskip(SKIP_2) | instid1(VALU_DEP_2)
	v_cndmask_b32_e32 v3, v1, v3, vcc_lo
	v_cos_f32_e32 v1, v0
	v_cmp_class_f32_e64 vcc_lo, v2, 0x260
	v_cndmask_b32_e32 v2, v3, v2, vcc_lo
	s_waitcnt_depctr 0xfff
	v_dual_mul_f32 v4, v27, v27 :: v_dual_mul_f32 v3, v2, v1
	s_delay_alu instid0(VALU_DEP_1) | instskip(SKIP_1) | instid1(VALU_DEP_2)
	v_fmac_f32_e32 v4, v28, v28
	v_mul_f32_e32 v0, v2, v5
	v_cmpx_ngt_f32_e32 0x1e3ce508, v4
	s_xor_b32 s2, exec_lo, s0
	s_cbranch_execz .LBB1_377
; %bb.376:                              ;   in Loop: Header=BB1_19 Depth=1
	v_cmp_gt_f32_e32 vcc_lo, 0xf800000, v4
	v_mul_f32_e32 v3, 0x4f800000, v4
	v_mul_f32_e32 v1, v2, v1
	s_delay_alu instid0(VALU_DEP_2) | instskip(NEXT) | instid1(VALU_DEP_1)
	v_cndmask_b32_e32 v3, v4, v3, vcc_lo
	v_sqrt_f32_e32 v4, v3
	s_waitcnt_depctr 0xfff
	v_add_nc_u32_e32 v6, 1, v4
	v_add_nc_u32_e32 v5, -1, v4
	s_delay_alu instid0(VALU_DEP_2) | instskip(NEXT) | instid1(VALU_DEP_2)
	v_fma_f32 v8, -v6, v4, v3
	v_fma_f32 v7, -v5, v4, v3
	s_delay_alu instid0(VALU_DEP_1) | instskip(NEXT) | instid1(VALU_DEP_1)
	v_cmp_ge_f32_e64 s0, 0, v7
	v_cndmask_b32_e64 v4, v4, v5, s0
	s_delay_alu instid0(VALU_DEP_4) | instskip(NEXT) | instid1(VALU_DEP_1)
	v_cmp_lt_f32_e64 s0, 0, v8
	v_cndmask_b32_e64 v4, v4, v6, s0
	s_delay_alu instid0(VALU_DEP_1) | instskip(NEXT) | instid1(VALU_DEP_1)
	v_mul_f32_e32 v5, 0x37800000, v4
	v_cndmask_b32_e32 v4, v4, v5, vcc_lo
	v_cmp_class_f32_e64 vcc_lo, v3, 0x260
	s_delay_alu instid0(VALU_DEP_2) | instskip(NEXT) | instid1(VALU_DEP_1)
	v_cndmask_b32_e32 v3, v4, v3, vcc_lo
	v_div_scale_f32 v4, null, v3, v3, v28
	v_div_scale_f32 v5, null, v3, v3, v27
	v_div_scale_f32 v10, vcc_lo, v28, v3, v28
	s_delay_alu instid0(VALU_DEP_3) | instskip(NEXT) | instid1(VALU_DEP_2)
	v_rcp_f32_e32 v6, v4
	v_rcp_f32_e32 v7, v5
	s_waitcnt_depctr 0xfff
	v_fma_f32 v8, -v4, v6, 1.0
	v_fma_f32 v9, -v5, v7, 1.0
	s_delay_alu instid0(VALU_DEP_1) | instskip(NEXT) | instid1(VALU_DEP_1)
	v_dual_fmac_f32 v6, v8, v6 :: v_dual_fmac_f32 v7, v9, v7
	v_mul_f32_e32 v9, v10, v6
	s_delay_alu instid0(VALU_DEP_1) | instskip(NEXT) | instid1(VALU_DEP_1)
	v_fma_f32 v12, -v4, v9, v10
	v_fmac_f32_e32 v9, v12, v6
	s_delay_alu instid0(VALU_DEP_1) | instskip(NEXT) | instid1(VALU_DEP_1)
	v_fma_f32 v4, -v4, v9, v10
	v_div_fmas_f32 v4, v4, v6, v9
	s_delay_alu instid0(VALU_DEP_1) | instskip(NEXT) | instid1(VALU_DEP_1)
	v_div_fixup_f32 v4, v4, v3, v28
	v_mul_f32_e32 v2, v29, v4
	v_div_scale_f32 v8, s0, v27, v3, v27
	v_mul_f32_e32 v4, v4, v0
	s_mov_b32 vcc_lo, s0
	s_delay_alu instid0(VALU_DEP_2) | instskip(NEXT) | instid1(VALU_DEP_1)
	v_dual_mul_f32 v2, v2, v1 :: v_dual_mul_f32 v11, v8, v7
	v_fma_f32 v13, -v5, v11, v8
	s_delay_alu instid0(VALU_DEP_1) | instskip(NEXT) | instid1(VALU_DEP_1)
	v_fmac_f32_e32 v11, v13, v7
	v_fma_f32 v5, -v5, v11, v8
	s_delay_alu instid0(VALU_DEP_1) | instskip(NEXT) | instid1(VALU_DEP_1)
	v_div_fmas_f32 v5, v5, v7, v11
	v_div_fixup_f32 v5, v5, v3, v27
	s_delay_alu instid0(VALU_DEP_1) | instskip(SKIP_2) | instid1(VALU_DEP_3)
	v_mul_f32_e32 v6, v29, v5
	v_fmac_f32_e32 v2, v5, v0
	v_mul_f32_e32 v0, v3, v1
                                        ; implicit-def: $vgpr3
	v_fma_f32 v4, v6, v1, -v4
	s_delay_alu instid0(VALU_DEP_3) | instskip(NEXT) | instid1(VALU_DEP_3)
	v_fmac_f32_e32 v2, v28, v37
	v_fma_f32 v29, v29, v37, -v0
                                        ; implicit-def: $vgpr0
	s_delay_alu instid0(VALU_DEP_3) | instskip(NEXT) | instid1(VALU_DEP_1)
	v_fmac_f32_e32 v4, v27, v37
	v_dual_mov_b32 v28, v2 :: v_dual_mov_b32 v27, v4
.LBB1_377:                              ;   in Loop: Header=BB1_19 Depth=1
	s_and_not1_saveexec_b32 s0, s2
; %bb.378:                              ;   in Loop: Header=BB1_19 Depth=1
	s_delay_alu instid0(VALU_DEP_3)
	v_dual_mul_f32 v29, v29, v37 :: v_dual_mov_b32 v28, v0
	v_mov_b32_e32 v27, v3
; %bb.379:                              ;   in Loop: Header=BB1_19 Depth=1
	s_or_b32 exec_lo, exec_lo, s0
.LBB1_380:                              ;   in Loop: Header=BB1_19 Depth=1
	s_delay_alu instid0(SALU_CYCLE_1) | instskip(SKIP_1) | instid1(VALU_DEP_1)
	s_or_b32 exec_lo, exec_lo, s1
	v_cndmask_b32_e64 v0, 0, 1, s10
	v_cmp_ne_u32_e32 vcc_lo, 0, v0
	s_and_saveexec_b32 s0, s5
	s_cbranch_execz .LBB1_382
; %bb.381:                              ;   in Loop: Header=BB1_19 Depth=1
	flat_load_b32 v0, v[71:72] glc dlc
	s_waitcnt vmcnt(0)
	s_bcnt1_i32_b32 s1, vcc_lo
	s_waitcnt lgkmcnt(0)
	v_add_nc_u32_e32 v0, s1, v0
	flat_store_b32 v[71:72], v0 dlc
	s_waitcnt_vscnt null, 0x0
	flat_load_b32 v0, v[59:60] glc dlc
	s_waitcnt vmcnt(0) lgkmcnt(0)
	v_add_nc_u32_e32 v0, 1, v0
	flat_store_b32 v[59:60], v0 dlc
	s_waitcnt_vscnt null, 0x0
.LBB1_382:                              ;   in Loop: Header=BB1_19 Depth=1
	s_or_b32 exec_lo, exec_lo, s0
.LBB1_383:                              ;   in Loop: Header=BB1_19 Depth=1
	v_or_b32_e32 v0, v33, v23
	s_delay_alu instid0(VALU_DEP_1) | instskip(SKIP_1) | instid1(VALU_DEP_1)
	v_mov_b32_e32 v1, v0
	;;#ASMSTART
	;;#ASMEND
	v_cmp_ne_u32_e32 vcc_lo, 0, v1
	s_cmp_eq_u32 vcc_lo, exec_lo
	s_cbranch_scc1 .LBB1_394
; %bb.384:                              ;   in Loop: Header=BB1_19 Depth=1
	v_and_b32_e32 v1, 0xff, v138
	s_delay_alu instid0(VALU_DEP_1) | instskip(NEXT) | instid1(VALU_DEP_1)
	v_cmp_eq_u16_e64 s0, 6, v1
	v_cndmask_b32_e64 v23, 0, 1, s0
	s_delay_alu instid0(VALU_DEP_1) | instskip(SKIP_1) | instid1(VALU_DEP_1)
	v_mov_b32_e32 v1, v23
	;;#ASMSTART
	;;#ASMEND
	v_cmp_ne_u32_e32 vcc_lo, 0, v1
	s_cbranch_vccz .LBB1_388
; %bb.385:                              ;   in Loop: Header=BB1_19 Depth=1
	v_cndmask_b32_e64 v1, 0, 1, s0
	s_delay_alu instid0(VALU_DEP_1)
	v_cmp_ne_u32_e32 vcc_lo, 0, v1
	s_and_saveexec_b32 s1, s5
	s_cbranch_execz .LBB1_387
; %bb.386:                              ;   in Loop: Header=BB1_19 Depth=1
	flat_load_b32 v1, v[73:74] glc dlc
	s_waitcnt vmcnt(0)
	s_bcnt1_i32_b32 s2, vcc_lo
	s_waitcnt lgkmcnt(0)
	v_add_nc_u32_e32 v1, s2, v1
	flat_store_b32 v[73:74], v1 dlc
	s_waitcnt_vscnt null, 0x0
	flat_load_b32 v1, v[59:60] glc dlc
	s_waitcnt vmcnt(0) lgkmcnt(0)
	v_add_nc_u32_e32 v1, 1, v1
	flat_store_b32 v[59:60], v1 dlc
	s_waitcnt_vscnt null, 0x0
.LBB1_387:                              ;   in Loop: Header=BB1_19 Depth=1
	s_or_b32 exec_lo, exec_lo, s1
	v_cndmask_b32_e64 v138, v138, 8, s0
.LBB1_388:                              ;   in Loop: Header=BB1_19 Depth=1
	v_or_b32_e32 v0, v0, v23
	s_delay_alu instid0(VALU_DEP_1) | instskip(SKIP_1) | instid1(VALU_DEP_1)
	v_mov_b32_e32 v1, v0
	;;#ASMSTART
	;;#ASMEND
	v_cmp_ne_u32_e32 vcc_lo, 0, v1
	s_cmp_eq_u32 vcc_lo, exec_lo
	s_cbranch_scc1 .LBB1_394
; %bb.389:                              ;   in Loop: Header=BB1_19 Depth=1
	v_and_b32_e32 v1, 0xff, v138
	s_delay_alu instid0(VALU_DEP_1) | instskip(NEXT) | instid1(VALU_DEP_1)
	v_cmp_eq_u16_e64 s0, 0, v1
	v_cndmask_b32_e64 v23, 0, 1, s0
	s_delay_alu instid0(VALU_DEP_1) | instskip(SKIP_1) | instid1(VALU_DEP_1)
	v_mov_b32_e32 v1, v23
	;;#ASMSTART
	;;#ASMEND
	v_cmp_ne_u32_e32 vcc_lo, 0, v1
	s_cbranch_vccz .LBB1_393
; %bb.390:                              ;   in Loop: Header=BB1_19 Depth=1
	v_cndmask_b32_e64 v1, 0, 1, s0
	s_delay_alu instid0(VALU_DEP_1)
	v_cmp_ne_u32_e32 vcc_lo, 0, v1
	s_and_saveexec_b32 s1, s5
	s_cbranch_execz .LBB1_392
; %bb.391:                              ;   in Loop: Header=BB1_19 Depth=1
	flat_load_b32 v1, v[45:46] glc dlc
	s_waitcnt vmcnt(0)
	s_bcnt1_i32_b32 s2, vcc_lo
	s_waitcnt lgkmcnt(0)
	v_add_nc_u32_e32 v1, s2, v1
	flat_store_b32 v[45:46], v1 dlc
	s_waitcnt_vscnt null, 0x0
	flat_load_b32 v1, v[59:60] glc dlc
	s_waitcnt vmcnt(0) lgkmcnt(0)
	v_add_nc_u32_e32 v1, 1, v1
	flat_store_b32 v[59:60], v1 dlc
	s_waitcnt_vscnt null, 0x0
.LBB1_392:                              ;   in Loop: Header=BB1_19 Depth=1
	s_or_b32 exec_lo, exec_lo, s1
	v_cndmask_b32_e64 v138, v138, 8, s0
.LBB1_393:                              ;   in Loop: Header=BB1_19 Depth=1
	v_or_b32_e32 v0, v23, v0
	v_mov_b32_e32 v33, v23
	s_delay_alu instid0(VALU_DEP_2) | instskip(SKIP_1) | instid1(VALU_DEP_1)
	v_xor_b32_e32 v0, 1, v0
	;;#ASMSTART
	;;#ASMEND
	v_cmp_ne_u32_e32 vcc_lo, 0, v0
	s_cmp_lg_u32 vcc_lo, exec_lo
	s_cselect_b32 s0, -1, 0
	s_xor_b32 s1, s33, -1
	s_delay_alu instid0(SALU_CYCLE_1)
	s_or_b32 s0, s0, s1
	s_branch .LBB1_395
.LBB1_394:                              ;   in Loop: Header=BB1_19 Depth=1
	s_mov_b32 s0, -1
	v_mov_b32_e32 v33, v23
.LBB1_395:                              ;   in Loop: Header=BB1_19 Depth=1
	s_and_b32 vcc_lo, exec_lo, s0
	s_cbranch_vccnz .LBB1_18
; %bb.396:                              ;   in Loop: Header=BB1_19 Depth=1
                                        ; implicit-def: $sgpr35
	s_and_not1_b32 vcc_lo, exec_lo, s91
	s_cbranch_vccnz .LBB1_19
.LBB1_397:
	s_mov_b32 s0, exec_lo
	s_waitcnt vmcnt(0) lgkmcnt(0)
	s_waitcnt_vscnt null, 0x0
	s_barrier
	buffer_gl0_inv
	v_cmpx_gt_u32_e32 9, v31
	s_cbranch_execz .LBB1_399
; %bb.398:
	v_lshlrev_b32_e32 v0, 2, v31
	s_getpc_b64 s[2:3]
	s_add_u32 s2, s2, total_step_counts@rel32@lo+4
	s_addc_u32 s3, s3, total_step_counts@rel32@hi+12
	s_mul_i32 s1, s28, 0x48
	s_load_b64 s[2:3], s[2:3], 0x0
	s_mul_hi_u32 s4, s28, 0x48
	v_add_nc_u32_e32 v10, 0x4000, v0
	ds_load_2addr_b32 v[0:1], v10 offset0:80 offset1:89
	ds_load_2addr_b32 v[2:3], v10 offset0:98 offset1:107
	;; [unrolled: 1-line block ×5, first 2 shown]
	s_waitcnt lgkmcnt(0)
	s_add_u32 s2, s2, s1
	s_addc_u32 s3, s3, s4
	v_add_nc_u32_e32 v11, v1, v0
	ds_load_2addr_b32 v[0:1], v10 offset0:170 offset1:179
	v_add3_u32 v11, v2, v11, v3
	ds_load_2addr_b32 v[2:3], v10 offset0:188 offset1:197
	v_add3_u32 v11, v4, v11, v5
	;; [unrolled: 2-line block ×3, first 2 shown]
	s_delay_alu instid0(VALU_DEP_1) | instskip(SKIP_1) | instid1(VALU_DEP_1)
	v_add3_u32 v6, v8, v6, v9
	s_waitcnt lgkmcnt(2)
	v_add3_u32 v0, v0, v6, v1
	v_mov_b32_e32 v1, 0
	s_waitcnt lgkmcnt(1)
	s_delay_alu instid0(VALU_DEP_2) | instskip(SKIP_2) | instid1(VALU_DEP_2)
	v_add3_u32 v0, v2, v0, v3
	v_lshlrev_b32_e32 v2, 3, v31
	s_waitcnt lgkmcnt(0)
	v_add3_u32 v0, v4, v0, v5
	global_store_b64 v2, v[0:1], s[2:3]
.LBB1_399:
	s_or_b32 exec_lo, exec_lo, s0
	s_delay_alu instid0(SALU_CYCLE_1)
	s_mov_b32 s0, exec_lo
	v_cmpx_eq_u32_e32 0, v31
	s_cbranch_execz .LBB1_403
; %bb.400:
	s_mov_b64 s[2:3], src_shared_base
	s_delay_alu instid0(SALU_CYCLE_1)
	v_dual_mov_b32 v0, 0x4480 :: v_dual_mov_b32 v1, s3
	s_mov_b32 s1, exec_lo
	flat_load_b64 v[2:3], v[0:1] glc dlc
	s_waitcnt vmcnt(0)
	v_mov_b32_e32 v0, 0x4488
	flat_load_b64 v[4:5], v[0:1] glc dlc
	s_waitcnt vmcnt(0)
	v_mov_b32_e32 v0, 0x4490
	;; [unrolled: 3-line block ×10, first 2 shown]
	s_waitcnt lgkmcnt(9)
	v_add_f64 v[2:3], v[2:3], 0
	s_waitcnt lgkmcnt(8)
	s_delay_alu instid0(VALU_DEP_1)
	v_add_f64 v[2:3], v[2:3], v[4:5]
	flat_load_b64 v[4:5], v[0:1] glc dlc
	s_waitcnt vmcnt(0)
	v_mov_b32_e32 v0, 0x44d8
	s_waitcnt lgkmcnt(8)
	v_add_f64 v[2:3], v[2:3], v[6:7]
	flat_load_b64 v[6:7], v[0:1] glc dlc
	s_waitcnt vmcnt(0)
	v_mov_b32_e32 v0, 0x44e0
	s_waitcnt lgkmcnt(8)
	v_add_f64 v[2:3], v[2:3], v[8:9]
	flat_load_b64 v[8:9], v[0:1] glc dlc
	s_waitcnt vmcnt(0)
	v_mov_b32_e32 v0, 0x44e8
	s_waitcnt lgkmcnt(8)
	v_add_f64 v[2:3], v[2:3], v[10:11]
	flat_load_b64 v[10:11], v[0:1] glc dlc
	s_waitcnt vmcnt(0)
	v_mov_b32_e32 v0, 0x44f0
	s_waitcnt lgkmcnt(8)
	v_add_f64 v[2:3], v[2:3], v[12:13]
	flat_load_b64 v[12:13], v[0:1] glc dlc
	s_waitcnt vmcnt(0)
	v_mov_b32_e32 v0, 0x44f8
	flat_load_b64 v[0:1], v[0:1] glc dlc
	s_waitcnt vmcnt(0) lgkmcnt(9)
	v_add_f64 v[2:3], v[2:3], v[14:15]
	s_waitcnt lgkmcnt(8)
	s_delay_alu instid0(VALU_DEP_1) | instskip(SKIP_1) | instid1(VALU_DEP_1)
	v_add_f64 v[2:3], v[2:3], v[16:17]
	s_waitcnt lgkmcnt(7)
	v_add_f64 v[2:3], v[2:3], v[18:19]
	s_waitcnt lgkmcnt(6)
	s_delay_alu instid0(VALU_DEP_1) | instskip(SKIP_1) | instid1(VALU_DEP_1)
	v_add_f64 v[2:3], v[2:3], v[20:21]
	s_waitcnt lgkmcnt(5)
	;; [unrolled: 5-line block ×4, first 2 shown]
	v_add_f64 v[2:3], v[2:3], v[12:13]
	s_waitcnt lgkmcnt(0)
	s_delay_alu instid0(VALU_DEP_1) | instskip(NEXT) | instid1(VALU_DEP_1)
	v_add_f64 v[0:1], v[2:3], v[0:1]
	v_cmpx_lt_f64_e32 0, v[0:1]
	s_cbranch_execz .LBB1_402
; %bb.401:
	s_getpc_b64 s[2:3]
	s_add_u32 s2, s2, total_weights@rel32@lo+4
	s_addc_u32 s3, s3, total_weights@rel32@hi+12
	s_lshl_b64 s[4:5], s[28:29], 3
	s_load_b64 s[2:3], s[2:3], 0x0
	v_mov_b32_e32 v4, 0
	s_waitcnt lgkmcnt(0)
	s_add_u32 s2, s2, s4
	s_addc_u32 s3, s3, s5
	global_load_b64 v[2:3], v4, s[2:3]
	s_waitcnt vmcnt(0)
	v_add_f64 v[0:1], v[0:1], v[2:3]
	global_store_b64 v4, v[0:1], s[2:3]
.LBB1_402:
	s_or_b32 exec_lo, exec_lo, s1
	s_mov_b64 s[2:3], src_shared_base
	s_delay_alu instid0(SALU_CYCLE_1)
	v_dual_mov_b32 v0, 0x4500 :: v_dual_mov_b32 v1, s3
	s_getpc_b64 s[2:3]
	s_add_u32 s2, s2, total_list_depth@rel32@lo+4
	s_addc_u32 s3, s3, total_list_depth@rel32@hi+12
	s_lshl_b64 s[4:5], s[28:29], 3
	s_load_b64 s[2:3], s[2:3], 0x0
	flat_load_b32 v2, v[0:1] glc dlc
	s_waitcnt vmcnt(0)
	v_mov_b32_e32 v0, 0x4540
	flat_load_b32 v3, v[0:1] glc dlc
	s_waitcnt vmcnt(0)
	v_mov_b32_e32 v0, 0x4504
	;; [unrolled: 3-line block ×4, first 2 shown]
	s_waitcnt lgkmcnt(0)
	s_add_u32 s2, s2, s4
	s_addc_u32 s3, s3, s5
	s_getpc_b64 s[6:7]
	s_add_u32 s6, s6, total_num_inner_iterations@rel32@lo+4
	s_addc_u32 s7, s7, total_num_inner_iterations@rel32@hi+12
	flat_load_b32 v6, v[0:1] glc dlc
	s_waitcnt vmcnt(0)
	v_mov_b32_e32 v0, 0x4548
	s_load_b64 s[6:7], s[6:7], 0x0
	flat_load_b32 v7, v[0:1] glc dlc
	s_waitcnt vmcnt(0)
	v_mov_b32_e32 v0, 0x450c
	flat_load_b32 v8, v[0:1] glc dlc
	s_waitcnt vmcnt(0)
	v_mov_b32_e32 v0, 0x454c
	;; [unrolled: 3-line block ×3, first 2 shown]
	s_waitcnt lgkmcnt(0)
	s_add_u32 s4, s6, s4
	s_addc_u32 s5, s7, s5
	flat_load_b32 v10, v[0:1] glc dlc
	s_waitcnt vmcnt(0)
	v_mov_b32_e32 v0, 0x4550
	flat_load_b32 v11, v[0:1] glc dlc
	s_waitcnt vmcnt(0)
	v_mov_b32_e32 v0, 0x4514
	;; [unrolled: 3-line block ×23, first 2 shown]
	flat_load_b32 v48, v[0:1] glc dlc
	s_waitcnt vmcnt(0)
	v_add_nc_u32_e32 v0, v4, v2
	v_add_nc_u32_e32 v1, v5, v3
	s_delay_alu instid0(VALU_DEP_2) | instskip(NEXT) | instid1(VALU_DEP_2)
	v_add3_u32 v0, v6, v0, v8
	v_add3_u32 v1, v7, v1, v9
	s_waitcnt lgkmcnt(21)
	s_delay_alu instid0(VALU_DEP_2) | instskip(SKIP_1) | instid1(VALU_DEP_2)
	v_add3_u32 v0, v10, v0, v12
	s_waitcnt lgkmcnt(20)
	v_add3_u32 v1, v11, v1, v13
	s_waitcnt lgkmcnt(17)
	s_delay_alu instid0(VALU_DEP_2) | instskip(SKIP_1) | instid1(VALU_DEP_2)
	v_add3_u32 v0, v14, v0, v16
	s_waitcnt lgkmcnt(16)
	;; [unrolled: 5-line block ×5, first 2 shown]
	v_add3_u32 v2, v37, v1, v40
	v_mov_b32_e32 v1, 0
	s_delay_alu instid0(VALU_DEP_1)
	v_mov_b32_e32 v3, v1
	s_waitcnt lgkmcnt(1)
	v_add3_u32 v0, v45, v0, v47
	s_waitcnt lgkmcnt(0)
	v_add3_u32 v2, v46, v2, v48
	s_clause 0x1
	global_store_b64 v1, v[0:1], s[2:3]
	global_store_b64 v1, v[2:3], s[4:5]
.LBB1_403:
	s_or_b32 exec_lo, exec_lo, s0
	s_getpc_b64 s[0:1]
	s_add_u32 s0, s0, MT_statuses@rel32@lo+4
	s_addc_u32 s1, s1, MT_statuses@rel32@hi+12
	v_dual_mov_b32 v33, v143 :: v_dual_lshlrev_b32 v0, 24, v23
	s_load_b64 s[2:3], s[0:1], 0x0
	v_and_b32_e32 v1, 0xff, v144
	v_and_b32_e32 v2, 0xff, v26
	v_mov_b32_e32 v26, v39
	v_mov_b32_e32 v30, v35
	s_mov_b32 s1, 0
	v_lshl_or_b32 v0, v1, 16, v0
	v_lshlrev_b32_e32 v1, 8, v2
	v_and_b32_e32 v2, 0xff, v138
	s_delay_alu instid0(VALU_DEP_1)
	v_or3_b32 v23, v0, v1, v2
	v_lshl_add_u32 v2, s28, 11, v141
	v_mov_b32_e32 v1, 0
	global_store_b128 v[41:42], v[23:26], off
	global_store_b128 v[43:44], v[32:35], off
	;; [unrolled: 1-line block ×3, first 2 shown]
	.p2align	6
.LBB1_404:                              ; =>This Inner Loop Header: Depth=1
	ds_load_b32 v5, v140
	v_add_nc_u32_e32 v0, v2, v139
	v_add_nc_u32_e32 v6, 32, v139
	v_cmp_lt_u32_e32 vcc_lo, 0x44, v139
	v_add_nc_u32_e32 v140, 0x80, v140
	s_delay_alu instid0(VALU_DEP_4) | instskip(NEXT) | instid1(VALU_DEP_4)
	v_lshlrev_b64 v[3:4], 2, v[0:1]
	v_mov_b32_e32 v139, v6
	s_or_b32 s1, vcc_lo, s1
	s_waitcnt lgkmcnt(0)
	s_delay_alu instid0(VALU_DEP_2) | instskip(NEXT) | instid1(VALU_DEP_1)
	v_add_co_u32 v3, s0, s2, v3
	v_add_co_ci_u32_e64 v4, s0, s3, v4, s0
	global_store_b32 v[3:4], v5, off
	s_and_not1_b32 exec_lo, exec_lo, s1
	s_cbranch_execnz .LBB1_404
; %bb.405:
	s_nop 0
	s_sendmsg sendmsg(MSG_DEALLOC_VGPRS)
	s_endpgm
	.section	.rodata,"a",@progbits
	.p2align	6, 0x0
	.amdhsa_kernel _Z22simulation_step_kernelbb
		.amdhsa_group_segment_fixed_size 17808
		.amdhsa_private_segment_fixed_size 0
		.amdhsa_kernarg_size 264
		.amdhsa_user_sgpr_count 14
		.amdhsa_user_sgpr_dispatch_ptr 0
		.amdhsa_user_sgpr_queue_ptr 0
		.amdhsa_user_sgpr_kernarg_segment_ptr 1
		.amdhsa_user_sgpr_dispatch_id 0
		.amdhsa_user_sgpr_private_segment_size 0
		.amdhsa_wavefront_size32 1
		.amdhsa_uses_dynamic_stack 0
		.amdhsa_enable_private_segment 0
		.amdhsa_system_sgpr_workgroup_id_x 1
		.amdhsa_system_sgpr_workgroup_id_y 1
		.amdhsa_system_sgpr_workgroup_id_z 0
		.amdhsa_system_sgpr_workgroup_info 0
		.amdhsa_system_vgpr_workitem_id 0
		.amdhsa_next_free_vgpr 160
		.amdhsa_next_free_sgpr 96
		.amdhsa_reserve_vcc 1
		.amdhsa_float_round_mode_32 0
		.amdhsa_float_round_mode_16_64 0
		.amdhsa_float_denorm_mode_32 3
		.amdhsa_float_denorm_mode_16_64 3
		.amdhsa_dx10_clamp 1
		.amdhsa_ieee_mode 1
		.amdhsa_fp16_overflow 0
		.amdhsa_workgroup_processor_mode 1
		.amdhsa_memory_ordered 1
		.amdhsa_forward_progress 0
		.amdhsa_shared_vgpr_count 0
		.amdhsa_exception_fp_ieee_invalid_op 0
		.amdhsa_exception_fp_denorm_src 0
		.amdhsa_exception_fp_ieee_div_zero 0
		.amdhsa_exception_fp_ieee_overflow 0
		.amdhsa_exception_fp_ieee_underflow 0
		.amdhsa_exception_fp_ieee_inexact 0
		.amdhsa_exception_int_div_zero 0
	.end_amdhsa_kernel
	.text
.Lfunc_end1:
	.size	_Z22simulation_step_kernelbb, .Lfunc_end1-_Z22simulation_step_kernelbb
                                        ; -- End function
	.section	.AMDGPU.csdata,"",@progbits
; Kernel info:
; codeLenInByte = 22852
; NumSgprs: 98
; NumVgprs: 160
; ScratchSize: 0
; MemoryBound: 1
; FloatMode: 240
; IeeeMode: 1
; LDSByteSize: 17808 bytes/workgroup (compile time only)
; SGPRBlocks: 12
; VGPRBlocks: 19
; NumSGPRsForWavesPerEU: 98
; NumVGPRsForWavesPerEU: 160
; Occupancy: 9
; WaveLimiterHint : 1
; COMPUTE_PGM_RSRC2:SCRATCH_EN: 0
; COMPUTE_PGM_RSRC2:USER_SGPR: 14
; COMPUTE_PGM_RSRC2:TRAP_HANDLER: 0
; COMPUTE_PGM_RSRC2:TGID_X_EN: 1
; COMPUTE_PGM_RSRC2:TGID_Y_EN: 1
; COMPUTE_PGM_RSRC2:TGID_Z_EN: 0
; COMPUTE_PGM_RSRC2:TIDIG_COMP_CNT: 0
	.text
	.protected	_Z26sum_detector_scores_kernelv ; -- Begin function _Z26sum_detector_scores_kernelv
	.globl	_Z26sum_detector_scores_kernelv
	.p2align	8
	.type	_Z26sum_detector_scores_kernelv,@function
_Z26sum_detector_scores_kernelv:        ; @_Z26sum_detector_scores_kernelv
; %bb.0:
	s_getpc_b64 s[2:3]
	s_add_u32 s2, s2, detector@rel32@lo+28
	s_addc_u32 s3, s3, detector@rel32@hi+36
	s_load_b64 s[2:3], s[2:3], 0x0
	s_waitcnt lgkmcnt(0)
	s_mul_i32 s6, s3, s2
	s_mov_b32 s2, exec_lo
	v_cmpx_gt_u32_e64 s6, v0
	s_cbranch_execz .LBB2_5
; %bb.1:
	s_getpc_b64 s[2:3]
	s_add_u32 s2, s2, detector_totals_count@rel32@lo+4
	s_addc_u32 s3, s3, detector_totals_count@rel32@hi+12
	s_and_b32 s4, s15, 3
	s_load_b32 s12, s[0:1], 0xc
	s_lshl_b32 s9, s4, 3
	v_mov_b32_e32 v1, 0
	s_add_u32 s7, s9, s2
	s_addc_u32 s8, 0, s3
	s_getpc_b64 s[2:3]
	s_add_u32 s2, s2, detector_totals_energy@rel32@lo+4
	s_addc_u32 s3, s3, detector_totals_energy@rel32@hi+12
	s_add_u32 s10, s9, s2
	s_addc_u32 s11, 0, s3
	s_getpc_b64 s[2:3]
	s_add_u32 s2, s2, detector_scores_energy@rel32@lo+4
	s_addc_u32 s3, s3, detector_scores_energy@rel32@hi+12
	s_getpc_b64 s[4:5]
	s_add_u32 s4, s4, detector_scores_count@rel32@lo+4
	s_addc_u32 s5, s5, detector_scores_count@rel32@hi+12
	s_cmp_lt_u32 s15, 4
	s_cselect_b32 s1, s11, s8
	s_cselect_b32 s0, s10, s7
	;; [unrolled: 1-line block ×3, first 2 shown]
	s_load_b64 s[0:1], s[0:1], 0x0
	s_cselect_b32 s3, s3, s5
	s_mov_b32 s7, 0
	s_waitcnt lgkmcnt(0)
	s_and_b32 s8, s12, 0xffff
	s_add_u32 s9, s2, s9
	s_addc_u32 s10, s3, 0
.LBB2_2:                                ; =>This Loop Header: Depth=1
                                        ;     Child Loop BB2_3 Depth 2
	v_mov_b32_e32 v4, 0
	v_lshlrev_b64 v[2:3], 2, v[0:1]
	v_mov_b32_e32 v5, 0
	s_mov_b64 s[2:3], 0
.LBB2_3:                                ;   Parent Loop BB2_2 Depth=1
                                        ; =>  This Inner Loop Header: Depth=2
	s_delay_alu instid0(SALU_CYCLE_1)
	s_add_u32 s4, s9, s2
	s_addc_u32 s5, s10, s3
	s_add_u32 s2, s2, 0x200
	s_clause 0x3
	s_load_b64 s[12:13], s[4:5], 0x0
	s_load_b64 s[14:15], s[4:5], 0x20
	;; [unrolled: 1-line block ×4, first 2 shown]
	s_addc_u32 s3, s3, 0
	s_cmpk_eq_i32 s2, 0xa00
	s_waitcnt lgkmcnt(0)
	v_add_co_u32 v6, vcc_lo, s12, v2
	v_add_co_ci_u32_e32 v7, vcc_lo, s13, v3, vcc_lo
	global_load_b32 v8, v[6:7], off
	v_add_co_u32 v6, vcc_lo, s14, v2
	v_add_co_ci_u32_e32 v7, vcc_lo, s15, v3, vcc_lo
	global_load_b32 v10, v[6:7], off
	v_add_co_u32 v6, vcc_lo, s16, v2
	v_add_co_ci_u32_e32 v7, vcc_lo, s17, v3, vcc_lo
	global_load_b32 v11, v[6:7], off
	v_add_co_u32 v6, vcc_lo, s18, v2
	v_add_co_ci_u32_e32 v7, vcc_lo, s19, v3, vcc_lo
	global_load_b32 v12, v[6:7], off
	s_clause 0x3
	s_load_b64 s[12:13], s[4:5], 0x80
	s_load_b64 s[14:15], s[4:5], 0xa0
	;; [unrolled: 1-line block ×4, first 2 shown]
	s_waitcnt lgkmcnt(0)
	v_add_co_u32 v6, vcc_lo, s12, v2
	v_add_co_ci_u32_e32 v7, vcc_lo, s13, v3, vcc_lo
	global_load_b32 v13, v[6:7], off
	v_add_co_u32 v6, vcc_lo, s14, v2
	v_add_co_ci_u32_e32 v7, vcc_lo, s15, v3, vcc_lo
	global_load_b32 v14, v[6:7], off
	v_add_co_u32 v6, vcc_lo, s16, v2
	v_add_co_ci_u32_e32 v7, vcc_lo, s17, v3, vcc_lo
	global_load_b32 v15, v[6:7], off
	v_add_co_u32 v6, vcc_lo, s18, v2
	v_add_co_ci_u32_e32 v7, vcc_lo, s19, v3, vcc_lo
	global_load_b32 v16, v[6:7], off
	s_clause 0x3
	s_load_b64 s[12:13], s[4:5], 0x100
	s_load_b64 s[14:15], s[4:5], 0x120
	s_load_b64 s[16:17], s[4:5], 0x140
	s_load_b64 s[18:19], s[4:5], 0x160
	s_waitcnt lgkmcnt(0)
	v_add_co_u32 v6, vcc_lo, s12, v2
	v_add_co_ci_u32_e32 v7, vcc_lo, s13, v3, vcc_lo
	s_load_b64 s[12:13], s[4:5], 0x180
	global_load_b32 v17, v[6:7], off
	s_waitcnt vmcnt(8)
	v_cvt_f64_f32_e32 v[6:7], v8
	v_add_co_u32 v8, vcc_lo, s14, v2
	v_add_co_ci_u32_e32 v9, vcc_lo, s15, v3, vcc_lo
	global_load_b32 v18, v[8:9], off
	s_waitcnt vmcnt(8)
	v_cvt_f64_f32_e32 v[8:9], v10
	v_add_f64 v[4:5], v[4:5], v[6:7]
	v_add_co_u32 v6, vcc_lo, s16, v2
	v_add_co_ci_u32_e32 v7, vcc_lo, s17, v3, vcc_lo
	global_load_b32 v10, v[6:7], off
	s_waitcnt vmcnt(8)
	v_cvt_f64_f32_e32 v[6:7], v11
	v_add_f64 v[4:5], v[4:5], v[8:9]
	v_add_co_u32 v8, vcc_lo, s18, v2
	v_add_co_ci_u32_e32 v9, vcc_lo, s19, v3, vcc_lo
	global_load_b32 v11, v[8:9], off
	s_waitcnt vmcnt(8)
	v_cvt_f64_f32_e32 v[8:9], v12
	s_clause 0x2
	s_load_b64 s[14:15], s[4:5], 0x1a0
	s_load_b64 s[16:17], s[4:5], 0x1c0
	;; [unrolled: 1-line block ×3, first 2 shown]
	v_add_f64 v[4:5], v[4:5], v[6:7]
	s_waitcnt lgkmcnt(0)
	v_add_co_u32 v6, vcc_lo, s12, v2
	v_add_co_ci_u32_e32 v7, vcc_lo, s13, v3, vcc_lo
	global_load_b32 v12, v[6:7], off
	s_waitcnt vmcnt(8)
	v_cvt_f64_f32_e32 v[6:7], v13
	v_add_f64 v[4:5], v[4:5], v[8:9]
	v_add_co_u32 v8, vcc_lo, s14, v2
	v_add_co_ci_u32_e32 v9, vcc_lo, s15, v3, vcc_lo
	global_load_b32 v13, v[8:9], off
	s_waitcnt vmcnt(8)
	v_cvt_f64_f32_e32 v[8:9], v14
	v_add_f64 v[4:5], v[4:5], v[6:7]
	;; [unrolled: 6-line block ×4, first 2 shown]
	s_waitcnt vmcnt(7)
	v_cvt_f64_f32_e32 v[6:7], v17
	s_delay_alu instid0(VALU_DEP_2) | instskip(SKIP_2) | instid1(VALU_DEP_2)
	v_add_f64 v[4:5], v[4:5], v[8:9]
	s_waitcnt vmcnt(6)
	v_cvt_f64_f32_e32 v[8:9], v18
	v_add_f64 v[4:5], v[4:5], v[6:7]
	s_waitcnt vmcnt(5)
	v_cvt_f64_f32_e32 v[6:7], v10
	s_delay_alu instid0(VALU_DEP_2) | instskip(SKIP_2) | instid1(VALU_DEP_2)
	v_add_f64 v[4:5], v[4:5], v[8:9]
	s_waitcnt vmcnt(4)
	v_cvt_f64_f32_e32 v[8:9], v11
	v_add_f64 v[4:5], v[4:5], v[6:7]
	;; [unrolled: 7-line block ×4, first 2 shown]
	s_delay_alu instid0(VALU_DEP_1)
	v_add_f64 v[4:5], v[4:5], v[8:9]
	s_cbranch_scc0 .LBB2_3
; %bb.4:                                ;   in Loop: Header=BB2_2 Depth=1
	v_lshlrev_b64 v[2:3], 3, v[0:1]
	v_add_nc_u32_e32 v0, s8, v0
	s_delay_alu instid0(VALU_DEP_2) | instskip(NEXT) | instid1(VALU_DEP_3)
	v_add_co_u32 v2, vcc_lo, s0, v2
	v_add_co_ci_u32_e32 v3, vcc_lo, s1, v3, vcc_lo
	s_delay_alu instid0(VALU_DEP_3)
	v_cmp_le_u32_e32 vcc_lo, s6, v0
	global_load_b64 v[6:7], v[2:3], off
	s_or_b32 s7, vcc_lo, s7
	s_waitcnt vmcnt(0)
	v_add_f64 v[4:5], v[4:5], v[6:7]
	global_store_b64 v[2:3], v[4:5], off
	s_and_not1_b32 exec_lo, exec_lo, s7
	s_cbranch_execnz .LBB2_2
.LBB2_5:
	s_nop 0
	s_sendmsg sendmsg(MSG_DEALLOC_VGPRS)
	s_endpgm
	.section	.rodata,"a",@progbits
	.p2align	6, 0x0
	.amdhsa_kernel _Z26sum_detector_scores_kernelv
		.amdhsa_group_segment_fixed_size 0
		.amdhsa_private_segment_fixed_size 0
		.amdhsa_kernarg_size 256
		.amdhsa_user_sgpr_count 15
		.amdhsa_user_sgpr_dispatch_ptr 0
		.amdhsa_user_sgpr_queue_ptr 0
		.amdhsa_user_sgpr_kernarg_segment_ptr 1
		.amdhsa_user_sgpr_dispatch_id 0
		.amdhsa_user_sgpr_private_segment_size 0
		.amdhsa_wavefront_size32 1
		.amdhsa_uses_dynamic_stack 0
		.amdhsa_enable_private_segment 0
		.amdhsa_system_sgpr_workgroup_id_x 1
		.amdhsa_system_sgpr_workgroup_id_y 0
		.amdhsa_system_sgpr_workgroup_id_z 0
		.amdhsa_system_sgpr_workgroup_info 0
		.amdhsa_system_vgpr_workitem_id 0
		.amdhsa_next_free_vgpr 19
		.amdhsa_next_free_sgpr 20
		.amdhsa_reserve_vcc 1
		.amdhsa_float_round_mode_32 0
		.amdhsa_float_round_mode_16_64 0
		.amdhsa_float_denorm_mode_32 3
		.amdhsa_float_denorm_mode_16_64 3
		.amdhsa_dx10_clamp 1
		.amdhsa_ieee_mode 1
		.amdhsa_fp16_overflow 0
		.amdhsa_workgroup_processor_mode 1
		.amdhsa_memory_ordered 1
		.amdhsa_forward_progress 0
		.amdhsa_shared_vgpr_count 0
		.amdhsa_exception_fp_ieee_invalid_op 0
		.amdhsa_exception_fp_denorm_src 0
		.amdhsa_exception_fp_ieee_div_zero 0
		.amdhsa_exception_fp_ieee_overflow 0
		.amdhsa_exception_fp_ieee_underflow 0
		.amdhsa_exception_fp_ieee_inexact 0
		.amdhsa_exception_int_div_zero 0
	.end_amdhsa_kernel
	.text
.Lfunc_end2:
	.size	_Z26sum_detector_scores_kernelv, .Lfunc_end2-_Z26sum_detector_scores_kernelv
                                        ; -- End function
	.section	.AMDGPU.csdata,"",@progbits
; Kernel info:
; codeLenInByte = 1116
; NumSgprs: 22
; NumVgprs: 19
; ScratchSize: 0
; MemoryBound: 0
; FloatMode: 240
; IeeeMode: 1
; LDSByteSize: 0 bytes/workgroup (compile time only)
; SGPRBlocks: 2
; VGPRBlocks: 2
; NumSGPRsForWavesPerEU: 22
; NumVGPRsForWavesPerEU: 19
; Occupancy: 16
; WaveLimiterHint : 0
; COMPUTE_PGM_RSRC2:SCRATCH_EN: 0
; COMPUTE_PGM_RSRC2:USER_SGPR: 15
; COMPUTE_PGM_RSRC2:TRAP_HANDLER: 0
; COMPUTE_PGM_RSRC2:TGID_X_EN: 1
; COMPUTE_PGM_RSRC2:TGID_Y_EN: 0
; COMPUTE_PGM_RSRC2:TGID_Z_EN: 0
; COMPUTE_PGM_RSRC2:TIDIG_COMP_CNT: 0
	.text
	.p2alignl 7, 3214868480
	.fill 96, 4, 3214868480
	.protected	stack                   ; @stack
	.type	stack,@object
	.section	.rodata,"a",@progbits
	.globl	stack
	.p2align	3, 0x0
stack:
	.zero	24
	.size	stack, 24

	.protected	total_list_depth        ; @total_list_depth
	.type	total_list_depth,@object
	.globl	total_list_depth
	.p2align	3, 0x0
total_list_depth:
	.quad	0
	.size	total_list_depth, 8

	.protected	total_num_inner_iterations ; @total_num_inner_iterations
	.type	total_num_inner_iterations,@object
	.globl	total_num_inner_iterations
	.p2align	3, 0x0
total_num_inner_iterations:
	.quad	0
	.size	total_num_inner_iterations, 8

	.protected	detector_scores_count   ; @detector_scores_count
	.type	detector_scores_count,@object
	.globl	detector_scores_count
	.p2align	4, 0x0
detector_scores_count:
	.zero	2560
	.size	detector_scores_count, 2560

	.protected	detector_scores_energy  ; @detector_scores_energy
	.type	detector_scores_energy,@object
	.globl	detector_scores_energy
	.p2align	4, 0x0
detector_scores_energy:
	.zero	2560
	.size	detector_scores_energy, 2560

	.protected	detector_totals_count   ; @detector_totals_count
	.type	detector_totals_count,@object
	.globl	detector_totals_count
	.p2align	4, 0x0
detector_totals_count:
	.zero	32
	.size	detector_totals_count, 32

	.protected	detector_totals_energy  ; @detector_totals_energy
	.type	detector_totals_energy,@object
	.globl	detector_totals_energy
	.p2align	4, 0x0
detector_totals_energy:
	.zero	32
	.size	detector_totals_energy, 32

	.protected	total_weights           ; @total_weights
	.type	total_weights,@object
	.globl	total_weights
	.p2align	3, 0x0
total_weights:
	.quad	0
	.size	total_weights, 8

	.protected	total_step_counts       ; @total_step_counts
	.type	total_step_counts,@object
	.globl	total_step_counts
	.p2align	3, 0x0
total_step_counts:
	.quad	0
	.size	total_step_counts, 8

	.protected	MT_statuses             ; @MT_statuses
	.type	MT_statuses,@object
	.globl	MT_statuses
	.p2align	3, 0x0
MT_statuses:
	.quad	0
	.size	MT_statuses, 8

	.protected	MT_params               ; @MT_params
	.type	MT_params,@object
	.globl	MT_params
	.p2align	3, 0x0
MT_params:
	.quad	0
	.size	MT_params, 8

	.protected	MT_tables               ; @MT_tables
	.type	MT_tables,@object
	.globl	MT_tables
	.p2align	3, 0x0
MT_tables:
	.quad	0
	.size	MT_tables, 8

	.protected	detector                ; @detector
	.type	detector,@object
	.globl	detector
	.p2align	3, 0x0
detector:
	.zero	32
	.size	detector, 32

	.protected	source                  ; @source
	.type	source,@object
	.globl	source
	.p2align	3, 0x0
source:
	.zero	80
	.size	source, 80

	.protected	phantom                 ; @phantom
	.type	phantom,@object
	.globl	phantom
	.p2align	3, 0x0
phantom:
	.zero	40
	.size	phantom, 40

	.protected	region_data             ; @region_data
	.type	region_data,@object
	.globl	region_data
	.p2align	3, 0x0
region_data:
	.quad	0
	.size	region_data, 8

	.protected	ge                      ; @ge
	.type	ge,@object
	.globl	ge
	.p2align	3, 0x0
ge:
	.quad	0
	.size	ge, 8

	.protected	gmfp                    ; @gmfp
	.type	gmfp,@object
	.globl	gmfp
	.p2align	3, 0x0
gmfp:
	.quad	0
	.size	gmfp, 8

	.protected	gbr1                    ; @gbr1
	.type	gbr1,@object
	.globl	gbr1
	.p2align	3, 0x0
gbr1:
	.quad	0
	.size	gbr1, 8

	.protected	gbr2                    ; @gbr2
	.type	gbr2,@object
	.globl	gbr2
	.p2align	3, 0x0
gbr2:
	.quad	0
	.size	gbr2, 8

	.protected	cohe                    ; @cohe
	.type	cohe,@object
	.globl	cohe
	.p2align	3, 0x0
cohe:
	.quad	0
	.size	cohe, 8

	.protected	pmax                    ; @pmax
	.type	pmax,@object
	.globl	pmax
	.p2align	3, 0x0
pmax:
	.quad	0
	.size	pmax, 8

	.protected	rayleigh_data           ; @rayleigh_data
	.type	rayleigh_data,@object
	.globl	rayleigh_data
	.p2align	3, 0x0
rayleigh_data:
	.quad	0
	.size	rayleigh_data, 8

	.protected	i_array                 ; @i_array
	.type	i_array,@object
	.globl	i_array
	.p2align	3, 0x0
i_array:
	.quad	0
	.size	i_array, 8

	.type	__hip_cuid_c62ad49a92992781,@object ; @__hip_cuid_c62ad49a92992781
	.section	.bss,"aw",@nobits
	.globl	__hip_cuid_c62ad49a92992781
__hip_cuid_c62ad49a92992781:
	.byte	0                               ; 0x0
	.size	__hip_cuid_c62ad49a92992781, 1

	.ident	"AMD clang version 19.0.0git (https://github.com/RadeonOpenCompute/llvm-project roc-6.4.0 25133 c7fe45cf4b819c5991fe208aaa96edf142730f1d)"
	.section	".note.GNU-stack","",@progbits
	.addrsig
	.addrsig_sym stack
	.addrsig_sym total_list_depth
	.addrsig_sym total_num_inner_iterations
	.addrsig_sym detector_scores_count
	.addrsig_sym detector_scores_energy
	.addrsig_sym detector_totals_count
	.addrsig_sym detector_totals_energy
	.addrsig_sym total_weights
	.addrsig_sym total_step_counts
	.addrsig_sym MT_statuses
	.addrsig_sym MT_params
	.addrsig_sym MT_tables
	.addrsig_sym detector
	.addrsig_sym source
	.addrsig_sym phantom
	.addrsig_sym region_data
	.addrsig_sym ge
	.addrsig_sym gmfp
	.addrsig_sym gbr1
	.addrsig_sym gbr2
	.addrsig_sym cohe
	.addrsig_sym pmax
	.addrsig_sym rayleigh_data
	.addrsig_sym i_array
	.addrsig_sym __hip_cuid_c62ad49a92992781
	.amdgpu_metadata
---
amdhsa.kernels:
  - .args:
      - .offset:         0
        .size:           1
        .value_kind:     by_value
      - .offset:         1
        .size:           1
        .value_kind:     by_value
      - .offset:         8
        .size:           4
        .value_kind:     hidden_block_count_x
      - .offset:         12
        .size:           4
        .value_kind:     hidden_block_count_y
      - .offset:         16
        .size:           4
        .value_kind:     hidden_block_count_z
      - .offset:         20
        .size:           2
        .value_kind:     hidden_group_size_x
      - .offset:         22
        .size:           2
        .value_kind:     hidden_group_size_y
      - .offset:         24
        .size:           2
        .value_kind:     hidden_group_size_z
      - .offset:         26
        .size:           2
        .value_kind:     hidden_remainder_x
      - .offset:         28
        .size:           2
        .value_kind:     hidden_remainder_y
      - .offset:         30
        .size:           2
        .value_kind:     hidden_remainder_z
      - .offset:         48
        .size:           8
        .value_kind:     hidden_global_offset_x
      - .offset:         56
        .size:           8
        .value_kind:     hidden_global_offset_y
      - .offset:         64
        .size:           8
        .value_kind:     hidden_global_offset_z
      - .offset:         72
        .size:           2
        .value_kind:     hidden_grid_dims
    .group_segment_fixed_size: 17808
    .kernarg_segment_align: 8
    .kernarg_segment_size: 264
    .language:       OpenCL C
    .language_version:
      - 2
      - 0
    .max_flat_workgroup_size: 1024
    .name:           _Z22simulation_step_kernelbb
    .private_segment_fixed_size: 0
    .sgpr_count:     98
    .sgpr_spill_count: 0
    .symbol:         _Z22simulation_step_kernelbb.kd
    .uniform_work_group_size: 1
    .uses_dynamic_stack: false
    .vgpr_count:     160
    .vgpr_spill_count: 0
    .wavefront_size: 32
    .workgroup_processor_mode: 1
  - .args:
      - .offset:         0
        .size:           4
        .value_kind:     hidden_block_count_x
      - .offset:         4
        .size:           4
        .value_kind:     hidden_block_count_y
      - .offset:         8
        .size:           4
        .value_kind:     hidden_block_count_z
      - .offset:         12
        .size:           2
        .value_kind:     hidden_group_size_x
      - .offset:         14
        .size:           2
        .value_kind:     hidden_group_size_y
      - .offset:         16
        .size:           2
        .value_kind:     hidden_group_size_z
      - .offset:         18
        .size:           2
        .value_kind:     hidden_remainder_x
      - .offset:         20
        .size:           2
        .value_kind:     hidden_remainder_y
      - .offset:         22
        .size:           2
        .value_kind:     hidden_remainder_z
      - .offset:         40
        .size:           8
        .value_kind:     hidden_global_offset_x
      - .offset:         48
        .size:           8
        .value_kind:     hidden_global_offset_y
      - .offset:         56
        .size:           8
        .value_kind:     hidden_global_offset_z
      - .offset:         64
        .size:           2
        .value_kind:     hidden_grid_dims
    .group_segment_fixed_size: 0
    .kernarg_segment_align: 8
    .kernarg_segment_size: 256
    .language:       OpenCL C
    .language_version:
      - 2
      - 0
    .max_flat_workgroup_size: 1024
    .name:           _Z26sum_detector_scores_kernelv
    .private_segment_fixed_size: 0
    .sgpr_count:     22
    .sgpr_spill_count: 0
    .symbol:         _Z26sum_detector_scores_kernelv.kd
    .uniform_work_group_size: 1
    .uses_dynamic_stack: false
    .vgpr_count:     19
    .vgpr_spill_count: 0
    .wavefront_size: 32
    .workgroup_processor_mode: 1
amdhsa.target:   amdgcn-amd-amdhsa--gfx1100
amdhsa.version:
  - 1
  - 2
...

	.end_amdgpu_metadata
